;; amdgpu-corpus repo=ROCm/rocFFT kind=compiled arch=gfx950 opt=O3
	.text
	.amdgcn_target "amdgcn-amd-amdhsa--gfx950"
	.amdhsa_code_object_version 6
	.protected	fft_rtc_fwd_len3456_factors_6_6_6_4_4_wgs_144_tpt_144_halfLds_sp_ip_CI_unitstride_sbrr_R2C_dirReg ; -- Begin function fft_rtc_fwd_len3456_factors_6_6_6_4_4_wgs_144_tpt_144_halfLds_sp_ip_CI_unitstride_sbrr_R2C_dirReg
	.globl	fft_rtc_fwd_len3456_factors_6_6_6_4_4_wgs_144_tpt_144_halfLds_sp_ip_CI_unitstride_sbrr_R2C_dirReg
	.p2align	8
	.type	fft_rtc_fwd_len3456_factors_6_6_6_4_4_wgs_144_tpt_144_halfLds_sp_ip_CI_unitstride_sbrr_R2C_dirReg,@function
fft_rtc_fwd_len3456_factors_6_6_6_4_4_wgs_144_tpt_144_halfLds_sp_ip_CI_unitstride_sbrr_R2C_dirReg: ; @fft_rtc_fwd_len3456_factors_6_6_6_4_4_wgs_144_tpt_144_halfLds_sp_ip_CI_unitstride_sbrr_R2C_dirReg
; %bb.0:
	s_load_dwordx2 s[8:9], s[0:1], 0x50
	s_load_dwordx4 s[4:7], s[0:1], 0x0
	s_load_dwordx2 s[10:11], s[0:1], 0x18
	v_mul_u32_u24_e32 v1, 0x1c8, v0
	v_add_u32_sdwa v6, s2, v1 dst_sel:DWORD dst_unused:UNUSED_PAD src0_sel:DWORD src1_sel:WORD_1
	v_mov_b32_e32 v4, 0
	s_waitcnt lgkmcnt(0)
	v_cmp_lt_u64_e64 s[2:3], s[6:7], 2
	v_mov_b32_e32 v7, v4
	s_and_b64 vcc, exec, s[2:3]
	v_mov_b64_e32 v[2:3], 0
	s_cbranch_vccnz .LBB0_8
; %bb.1:
	s_load_dwordx2 s[2:3], s[0:1], 0x10
	s_add_u32 s12, s10, 8
	s_addc_u32 s13, s11, 0
	s_mov_b64 s[14:15], 1
	v_mov_b64_e32 v[2:3], 0
	s_waitcnt lgkmcnt(0)
	s_add_u32 s16, s2, 8
	s_addc_u32 s17, s3, 0
.LBB0_2:                                ; =>This Inner Loop Header: Depth=1
	s_load_dwordx2 s[18:19], s[16:17], 0x0
                                        ; implicit-def: $vgpr8_vgpr9
	s_waitcnt lgkmcnt(0)
	v_or_b32_e32 v5, s19, v7
	v_cmp_ne_u64_e32 vcc, 0, v[4:5]
	s_and_saveexec_b64 s[2:3], vcc
	s_xor_b64 s[20:21], exec, s[2:3]
	s_cbranch_execz .LBB0_4
; %bb.3:                                ;   in Loop: Header=BB0_2 Depth=1
	v_cvt_f32_u32_e32 v1, s18
	v_cvt_f32_u32_e32 v5, s19
	s_sub_u32 s2, 0, s18
	s_subb_u32 s3, 0, s19
	v_fmac_f32_e32 v1, 0x4f800000, v5
	v_rcp_f32_e32 v1, v1
	s_nop 0
	v_mul_f32_e32 v1, 0x5f7ffffc, v1
	v_mul_f32_e32 v5, 0x2f800000, v1
	v_trunc_f32_e32 v5, v5
	v_fmac_f32_e32 v1, 0xcf800000, v5
	v_cvt_u32_f32_e32 v5, v5
	v_cvt_u32_f32_e32 v1, v1
	v_mul_lo_u32 v8, s2, v5
	v_mul_hi_u32 v10, s2, v1
	v_mul_lo_u32 v9, s3, v1
	v_add_u32_e32 v10, v10, v8
	v_mul_lo_u32 v12, s2, v1
	v_add_u32_e32 v13, v10, v9
	v_mul_hi_u32 v8, v1, v12
	v_mul_hi_u32 v11, v1, v13
	v_mul_lo_u32 v10, v1, v13
	v_mov_b32_e32 v9, v4
	v_lshl_add_u64 v[8:9], v[8:9], 0, v[10:11]
	v_mul_hi_u32 v11, v5, v12
	v_mul_lo_u32 v12, v5, v12
	v_add_co_u32_e32 v8, vcc, v8, v12
	v_mul_hi_u32 v10, v5, v13
	s_nop 0
	v_addc_co_u32_e32 v8, vcc, v9, v11, vcc
	v_mov_b32_e32 v9, v4
	s_nop 0
	v_addc_co_u32_e32 v11, vcc, 0, v10, vcc
	v_mul_lo_u32 v10, v5, v13
	v_lshl_add_u64 v[8:9], v[8:9], 0, v[10:11]
	v_add_co_u32_e32 v1, vcc, v1, v8
	v_mul_lo_u32 v10, s2, v1
	s_nop 0
	v_addc_co_u32_e32 v5, vcc, v5, v9, vcc
	v_mul_lo_u32 v8, s2, v5
	v_mul_hi_u32 v9, s2, v1
	v_add_u32_e32 v8, v9, v8
	v_mul_lo_u32 v9, s3, v1
	v_add_u32_e32 v12, v8, v9
	v_mul_hi_u32 v14, v5, v10
	v_mul_lo_u32 v15, v5, v10
	v_mul_hi_u32 v9, v1, v12
	v_mul_lo_u32 v8, v1, v12
	v_mul_hi_u32 v10, v1, v10
	v_mov_b32_e32 v11, v4
	v_lshl_add_u64 v[8:9], v[10:11], 0, v[8:9]
	v_add_co_u32_e32 v8, vcc, v8, v15
	v_mul_hi_u32 v13, v5, v12
	s_nop 0
	v_addc_co_u32_e32 v8, vcc, v9, v14, vcc
	v_mul_lo_u32 v10, v5, v12
	s_nop 0
	v_addc_co_u32_e32 v11, vcc, 0, v13, vcc
	v_mov_b32_e32 v9, v4
	v_lshl_add_u64 v[8:9], v[8:9], 0, v[10:11]
	v_add_co_u32_e32 v1, vcc, v1, v8
	v_mul_hi_u32 v10, v6, v1
	s_nop 0
	v_addc_co_u32_e32 v5, vcc, v5, v9, vcc
	v_mad_u64_u32 v[8:9], s[2:3], v6, v5, 0
	v_mov_b32_e32 v11, v4
	v_lshl_add_u64 v[8:9], v[10:11], 0, v[8:9]
	v_mad_u64_u32 v[12:13], s[2:3], v7, v1, 0
	v_add_co_u32_e32 v1, vcc, v8, v12
	v_mad_u64_u32 v[10:11], s[2:3], v7, v5, 0
	s_nop 0
	v_addc_co_u32_e32 v8, vcc, v9, v13, vcc
	v_mov_b32_e32 v9, v4
	s_nop 0
	v_addc_co_u32_e32 v11, vcc, 0, v11, vcc
	v_lshl_add_u64 v[8:9], v[8:9], 0, v[10:11]
	v_mul_lo_u32 v1, s19, v8
	v_mul_lo_u32 v5, s18, v9
	v_mad_u64_u32 v[10:11], s[2:3], s18, v8, 0
	v_add3_u32 v1, v11, v5, v1
	v_sub_u32_e32 v5, v7, v1
	v_mov_b32_e32 v11, s19
	v_sub_co_u32_e32 v14, vcc, v6, v10
	v_lshl_add_u64 v[12:13], v[8:9], 0, 1
	s_nop 0
	v_subb_co_u32_e64 v5, s[2:3], v5, v11, vcc
	v_subrev_co_u32_e64 v10, s[2:3], s18, v14
	v_subb_co_u32_e32 v1, vcc, v7, v1, vcc
	s_nop 0
	v_subbrev_co_u32_e64 v5, s[2:3], 0, v5, s[2:3]
	v_cmp_le_u32_e64 s[2:3], s19, v5
	v_cmp_le_u32_e32 vcc, s19, v1
	s_nop 0
	v_cndmask_b32_e64 v11, 0, -1, s[2:3]
	v_cmp_le_u32_e64 s[2:3], s18, v10
	s_nop 1
	v_cndmask_b32_e64 v10, 0, -1, s[2:3]
	v_cmp_eq_u32_e64 s[2:3], s19, v5
	s_nop 1
	v_cndmask_b32_e64 v5, v11, v10, s[2:3]
	v_lshl_add_u64 v[10:11], v[8:9], 0, 2
	v_cmp_ne_u32_e64 s[2:3], 0, v5
	s_nop 1
	v_cndmask_b32_e64 v5, v13, v11, s[2:3]
	v_cndmask_b32_e64 v11, 0, -1, vcc
	v_cmp_le_u32_e32 vcc, s18, v14
	s_nop 1
	v_cndmask_b32_e64 v13, 0, -1, vcc
	v_cmp_eq_u32_e32 vcc, s19, v1
	s_nop 1
	v_cndmask_b32_e32 v1, v11, v13, vcc
	v_cmp_ne_u32_e32 vcc, 0, v1
	v_cndmask_b32_e64 v1, v12, v10, s[2:3]
	s_nop 0
	v_cndmask_b32_e32 v9, v9, v5, vcc
	v_cndmask_b32_e32 v8, v8, v1, vcc
.LBB0_4:                                ;   in Loop: Header=BB0_2 Depth=1
	s_andn2_saveexec_b64 s[2:3], s[20:21]
	s_cbranch_execz .LBB0_6
; %bb.5:                                ;   in Loop: Header=BB0_2 Depth=1
	v_cvt_f32_u32_e32 v1, s18
	s_sub_i32 s20, 0, s18
	v_rcp_iflag_f32_e32 v1, v1
	s_nop 0
	v_mul_f32_e32 v1, 0x4f7ffffe, v1
	v_cvt_u32_f32_e32 v1, v1
	v_mul_lo_u32 v5, s20, v1
	v_mul_hi_u32 v5, v1, v5
	v_add_u32_e32 v1, v1, v5
	v_mul_hi_u32 v1, v6, v1
	v_mul_lo_u32 v5, v1, s18
	v_sub_u32_e32 v5, v6, v5
	v_add_u32_e32 v8, 1, v1
	v_subrev_u32_e32 v9, s18, v5
	v_cmp_le_u32_e32 vcc, s18, v5
	s_nop 1
	v_cndmask_b32_e32 v5, v5, v9, vcc
	v_cndmask_b32_e32 v1, v1, v8, vcc
	v_add_u32_e32 v8, 1, v1
	v_cmp_le_u32_e32 vcc, s18, v5
	v_mov_b32_e32 v9, v4
	s_nop 0
	v_cndmask_b32_e32 v8, v1, v8, vcc
.LBB0_6:                                ;   in Loop: Header=BB0_2 Depth=1
	s_or_b64 exec, exec, s[2:3]
	v_mad_u64_u32 v[10:11], s[2:3], v8, s18, 0
	s_load_dwordx2 s[2:3], s[12:13], 0x0
	v_mul_lo_u32 v1, v9, s18
	v_mul_lo_u32 v5, v8, s19
	v_add3_u32 v1, v11, v5, v1
	v_sub_co_u32_e32 v5, vcc, v6, v10
	s_add_u32 s14, s14, 1
	s_nop 0
	v_subb_co_u32_e32 v1, vcc, v7, v1, vcc
	s_addc_u32 s15, s15, 0
	s_waitcnt lgkmcnt(0)
	v_mul_lo_u32 v1, s2, v1
	v_mul_lo_u32 v6, s3, v5
	v_mad_u64_u32 v[2:3], s[2:3], s2, v5, v[2:3]
	s_add_u32 s12, s12, 8
	v_add3_u32 v3, v6, v3, v1
	s_addc_u32 s13, s13, 0
	v_mov_b64_e32 v[6:7], s[6:7]
	s_add_u32 s16, s16, 8
	v_cmp_ge_u64_e32 vcc, s[14:15], v[6:7]
	s_addc_u32 s17, s17, 0
	s_cbranch_vccnz .LBB0_9
; %bb.7:                                ;   in Loop: Header=BB0_2 Depth=1
	v_mov_b64_e32 v[6:7], v[8:9]
	s_branch .LBB0_2
.LBB0_8:
	v_mov_b64_e32 v[8:9], v[6:7]
.LBB0_9:
	s_lshl_b64 s[2:3], s[6:7], 3
	s_add_u32 s2, s10, s2
	s_addc_u32 s3, s11, s3
	s_load_dwordx2 s[6:7], s[2:3], 0x0
	s_load_dwordx2 s[10:11], s[0:1], 0x20
	s_mov_b32 s2, 0x1c71c72
                                        ; implicit-def: $vgpr16_vgpr17
                                        ; implicit-def: $vgpr20
                                        ; implicit-def: $vgpr18
                                        ; implicit-def: $vgpr14
                                        ; implicit-def: $vgpr12
	s_waitcnt lgkmcnt(0)
	v_mul_lo_u32 v1, s6, v9
	v_mul_lo_u32 v4, s7, v8
	v_mad_u64_u32 v[2:3], s[0:1], s6, v8, v[2:3]
	v_add3_u32 v3, v4, v3, v1
	v_mul_hi_u32 v1, v0, s2
	v_mul_u32_u24_e32 v1, 0x90, v1
	v_cmp_gt_u64_e64 s[0:1], s[10:11], v[8:9]
	v_cmp_le_u64_e32 vcc, s[10:11], v[8:9]
	v_sub_u32_e32 v8, v0, v1
	s_and_saveexec_b64 s[2:3], vcc
	s_xor_b64 s[2:3], exec, s[2:3]
; %bb.10:
	v_add_u32_e32 v17, 0x90, v8
	v_add_u32_e32 v16, 0x120, v8
	;; [unrolled: 1-line block ×5, first 2 shown]
	v_mov_b32_e32 v12, v17
; %bb.11:
	s_or_saveexec_b64 s[2:3], s[2:3]
	v_lshl_add_u64 v[10:11], v[2:3], 3, s[8:9]
	s_xor_b64 exec, exec, s[2:3]
	s_cbranch_execz .LBB0_13
; %bb.12:
	v_mov_b32_e32 v9, 0
	v_add_u32_e32 v17, 0x90, v8
	v_add_u32_e32 v16, 0x120, v8
	v_mov_b32_e32 v4, v17
	v_mov_b32_e32 v5, v9
	;; [unrolled: 1-line block ×4, first 2 shown]
	v_lshl_add_u64 v[0:1], v[8:9], 3, v[10:11]
	v_lshl_add_u64 v[4:5], v[4:5], 3, v[10:11]
	;; [unrolled: 1-line block ×3, first 2 shown]
	s_movk_i32 s6, 0x1000
	global_load_dwordx2 v[2:3], v[0:1], off
	global_load_dwordx2 v[12:13], v[6:7], off
	global_load_dwordx2 v[22:23], v[4:5], off
	global_load_dwordx2 v[24:25], v[0:1], off offset:3456
	v_add_co_u32_e32 v4, vcc, s6, v0
	s_movk_i32 s6, 0x2000
	s_nop 0
	v_addc_co_u32_e32 v5, vcc, 0, v1, vcc
	global_load_dwordx2 v[6:7], v[4:5], off offset:512
	global_load_dwordx2 v[26:27], v[4:5], off offset:1664
	;; [unrolled: 1-line block ×4, first 2 shown]
	v_add_co_u32_e32 v4, vcc, s6, v0
	s_movk_i32 s6, 0x3000
	s_nop 0
	v_addc_co_u32_e32 v5, vcc, 0, v1, vcc
	v_add_co_u32_e32 v14, vcc, s6, v0
	s_movk_i32 s6, 0x4000
	s_nop 0
	v_addc_co_u32_e32 v15, vcc, 0, v1, vcc
	global_load_dwordx2 v[32:33], v[4:5], off offset:1024
	global_load_dwordx2 v[34:35], v[4:5], off offset:2176
	global_load_dwordx2 v[36:37], v[4:5], off offset:3328
	global_load_dwordx2 v[38:39], v[14:15], off offset:384
	v_add_co_u32_e32 v4, vcc, s6, v0
	s_movk_i32 s6, 0x5000
	s_nop 0
	v_addc_co_u32_e32 v5, vcc, 0, v1, vcc
	v_add_co_u32_e32 v18, vcc, s6, v0
	global_load_dwordx2 v[40:41], v[14:15], off offset:1536
	global_load_dwordx2 v[42:43], v[14:15], off offset:2688
	;; [unrolled: 1-line block ×4, first 2 shown]
	v_or_b32_e32 v14, 0x900, v8
	v_mov_b32_e32 v15, v9
	v_addc_co_u32_e32 v19, vcc, 0, v1, vcc
	v_lshl_add_u64 v[14:15], v[14:15], 3, v[10:11]
	global_load_dwordx2 v[48:49], v[18:19], off offset:1408
	global_load_dwordx2 v[50:51], v[18:19], off offset:256
	global_load_dwordx2 v[52:53], v[14:15], off
	global_load_dwordx2 v[54:55], v[4:5], off offset:3200
	v_add_co_u32_e32 v0, vcc, 0x6000, v0
	v_lshl_add_u32 v9, v16, 3, 0
	s_nop 0
	v_addc_co_u32_e32 v1, vcc, 0, v1, vcc
	global_load_dwordx2 v[4:5], v[18:19], off offset:2560
	global_load_dwordx2 v[56:57], v[18:19], off offset:3712
	;; [unrolled: 1-line block ×4, first 2 shown]
	v_lshl_add_u32 v0, v8, 3, 0
	v_lshl_add_u32 v1, v17, 3, 0
	v_add_u32_e32 v15, 0xc00, v0
	v_add_u32_e32 v19, 0x1400, v0
	;; [unrolled: 1-line block ×7, first 2 shown]
	s_waitcnt vmcnt(23)
	ds_write_b64 v0, v[2:3]
	s_waitcnt vmcnt(21)
	ds_write_b64 v1, v[22:23]
	ds_write_b64 v9, v[12:13]
	s_waitcnt vmcnt(19)
	ds_write2_b64 v15, v[24:25], v[6:7] offset0:48 offset1:192
	s_waitcnt vmcnt(17)
	ds_write2_b64 v19, v[26:27], v[28:29] offset0:80 offset1:224
	;; [unrolled: 2-line block ×4, first 2 shown]
	v_add_u32_e32 v1, 0x3000, v0
	v_mov_b32_e32 v12, v17
	s_waitcnt vmcnt(11)
	ds_write2_b64 v1, v[38:39], v[40:41] offset0:48 offset1:192
	v_add_u32_e32 v1, 0x3800, v0
	s_waitcnt vmcnt(9)
	ds_write2_b64 v1, v[42:43], v[44:45] offset0:80 offset1:224
	v_add_u32_e32 v1, 0x4200, v0
	;; [unrolled: 3-line block ×5, first 2 shown]
	s_waitcnt vmcnt(1)
	ds_write2_b64 v1, v[56:57], v[58:59] offset0:80 offset1:224
	s_waitcnt vmcnt(0)
	ds_write_b64 v0, v[60:61] offset:26496
.LBB0_13:
	s_or_b64 exec, exec, s[2:3]
	v_lshlrev_b32_e32 v9, 3, v8
	v_add_u32_e32 v30, 0, v9
	v_add_u32_e32 v35, 0x2400, v30
	s_waitcnt lgkmcnt(0)
	s_barrier
	ds_read2_b64 v[0:3], v30 offset1:144
	ds_read2_b64 v[22:25], v35 offset1:144
	v_add_u32_e32 v4, 0x1000, v30
	v_add_u32_e32 v36, 0x4800, v30
	ds_read2_b64 v[4:7], v4 offset0:64 offset1:208
	v_add_u32_e32 v33, 0x3400, v30
	ds_read2_b64 v[26:29], v36 offset1:144
	ds_read2_b64 v[38:41], v33 offset0:64 offset1:208
	v_add_u32_e32 v21, 0x5800, v30
	ds_read2_b64 v[42:45], v21 offset0:64 offset1:208
	s_waitcnt lgkmcnt(4)
	v_pk_add_f32 v[46:47], v[0:1], v[22:23]
	s_mov_b32 s2, 0x3f5db3d7
	s_waitcnt lgkmcnt(2)
	v_pk_add_f32 v[70:71], v[46:47], v[26:27]
	v_pk_add_f32 v[46:47], v[22:23], v[26:27]
	v_pk_add_f32 v[22:23], v[22:23], v[26:27] neg_lo:[0,1] neg_hi:[0,1]
	s_mov_b32 s3, 0xbf5db3d7
	v_pk_fma_f32 v[0:1], v[46:47], 0.5, v[0:1] op_sel_hi:[1,0,1] neg_lo:[1,0,0] neg_hi:[1,0,0]
	v_pk_mul_f32 v[22:23], v[22:23], s[2:3] op_sel_hi:[1,0]
	s_waitcnt lgkmcnt(0)
	v_pk_add_f32 v[46:47], v[38:39], v[42:43] neg_lo:[0,1] neg_hi:[0,1]
	v_pk_add_f32 v[26:27], v[0:1], v[22:23] op_sel:[0,1] op_sel_hi:[1,0]
	v_pk_add_f32 v[0:1], v[0:1], v[22:23] op_sel:[0,1] op_sel_hi:[1,0] neg_lo:[0,1] neg_hi:[0,1]
	v_pk_add_f32 v[22:23], v[38:39], v[42:43]
	s_mov_b32 s6, 0.5
	v_pk_fma_f32 v[22:23], v[22:23], 0.5, v[4:5] op_sel_hi:[1,0,1] neg_lo:[1,0,0] neg_hi:[1,0,0]
	s_mov_b32 s7, s2
	v_pk_fma_f32 v[72:73], v[46:47], s[2:3], v[22:23] op_sel:[0,0,1] op_sel_hi:[1,0,0]
	v_pk_fma_f32 v[22:23], v[46:47], s[2:3], v[22:23] op_sel:[0,0,1] op_sel_hi:[1,0,0] neg_lo:[1,0,0] neg_hi:[1,0,0]
	v_pk_mul_f32 v[46:47], v[72:73], s[6:7] op_sel:[1,0]
	s_mov_b32 s8, s2
	s_mov_b32 s9, s6
	v_pk_fma_f32 v[74:75], v[22:23], s[8:9], v[46:47]
	v_pk_fma_f32 v[46:47], v[22:23], s[8:9], v[46:47] op_sel_hi:[0,1,1] neg_lo:[0,0,1] neg_hi:[0,0,1]
	v_mov_b32_e32 v22, v72
	v_pk_add_f32 v[4:5], v[4:5], v[38:39]
	v_pk_mul_f32 v[72:73], v[22:23], 0.5 op_sel_hi:[1,0]
	v_add_u32_e32 v15, 0x800, v30
	v_pk_add_f32 v[4:5], v[4:5], v[42:43]
	v_mov_b32_e32 v43, v1
	v_pk_fma_f32 v[22:23], v[22:23], s[2:3], v[72:73] op_sel:[0,0,1] op_sel_hi:[1,1,0] neg_lo:[0,0,1] neg_hi:[0,0,1]
	v_mov_b32_e32 v1, v27
	v_add_u32_e32 v13, 0x1800, v30
	v_add_u32_e32 v34, 0x2c00, v30
	;; [unrolled: 1-line block ×3, first 2 shown]
	v_mov_b32_e32 v75, v47
	v_add_u32_e32 v37, 0x5000, v30
	v_add_u32_e32 v38, 0x6000, v30
	ds_read2_b64 v[46:49], v15 offset0:32 offset1:176
	ds_read2_b64 v[50:53], v13 offset0:96 offset1:240
	;; [unrolled: 1-line block ×6, first 2 shown]
	v_mov_b32_e32 v42, v26
	v_mad_u32_u24 v15, v8, 40, v30
	v_pk_add_f32 v[76:77], v[70:71], v[4:5]
	v_pk_add_f32 v[4:5], v[70:71], v[4:5] neg_lo:[0,1] neg_hi:[0,1]
	v_pk_add_f32 v[26:27], v[0:1], v[22:23]
	s_waitcnt lgkmcnt(0)
	s_barrier
	ds_write2_b64 v15, v[26:27], v[4:5] offset0:2 offset1:3
	v_pk_add_f32 v[4:5], v[42:43], v[74:75] neg_lo:[0,1] neg_hi:[0,1]
	v_pk_add_f32 v[0:1], v[0:1], v[22:23] neg_lo:[0,1] neg_hi:[0,1]
	ds_write2_b64 v15, v[4:5], v[0:1] offset0:4 offset1:5
	v_pk_add_f32 v[0:1], v[2:3], v[24:25]
	v_pk_add_f32 v[4:5], v[24:25], v[28:29]
	v_pk_add_f32 v[22:23], v[24:25], v[28:29] neg_lo:[0,1] neg_hi:[0,1]
	v_pk_add_f32 v[26:27], v[40:41], v[44:45]
	v_pk_add_f32 v[0:1], v[0:1], v[28:29]
	;; [unrolled: 1-line block ×3, first 2 shown]
	v_pk_add_f32 v[28:29], v[40:41], v[44:45] neg_lo:[0,1] neg_hi:[0,1]
	v_pk_fma_f32 v[2:3], v[4:5], 0.5, v[2:3] op_sel_hi:[1,0,1] neg_lo:[1,0,0] neg_hi:[1,0,0]
	v_pk_fma_f32 v[4:5], v[26:27], 0.5, v[6:7] op_sel_hi:[1,0,1] neg_lo:[1,0,0] neg_hi:[1,0,0]
	v_pk_mul_f32 v[6:7], v[22:23], s[2:3] op_sel_hi:[1,0]
	v_pk_add_f32 v[78:79], v[42:43], v[74:75]
	v_pk_add_f32 v[22:23], v[2:3], v[6:7] op_sel:[0,1] op_sel_hi:[1,0]
	v_pk_add_f32 v[2:3], v[2:3], v[6:7] op_sel:[0,1] op_sel_hi:[1,0] neg_lo:[0,1] neg_hi:[0,1]
	v_pk_fma_f32 v[6:7], v[28:29], s[2:3], v[4:5] op_sel:[0,0,1] op_sel_hi:[1,0,0]
	v_pk_fma_f32 v[4:5], v[28:29], s[2:3], v[4:5] op_sel:[0,0,1] op_sel_hi:[1,0,0] neg_lo:[1,0,0] neg_hi:[1,0,0]
	v_pk_mul_f32 v[26:27], v[6:7], s[6:7] op_sel:[1,0]
	ds_write2_b64 v15, v[76:77], v[78:79] offset1:1
	v_pk_fma_f32 v[28:29], v[4:5], s[8:9], v[26:27]
	v_pk_fma_f32 v[26:27], v[4:5], s[8:9], v[26:27] op_sel_hi:[0,1,1] neg_lo:[0,0,1] neg_hi:[0,0,1]
	v_mul_i32_i24_e32 v4, 6, v12
	v_lshl_add_u32 v15, v4, 3, 0
	v_mov_b32_e32 v4, v6
	v_pk_mul_f32 v[6:7], v[4:5], 0.5 op_sel_hi:[1,0]
	v_pk_add_f32 v[24:25], v[24:25], v[44:45]
	v_mov_b32_e32 v29, v27
	v_mov_b32_e32 v27, v3
	v_pk_fma_f32 v[4:5], v[4:5], s[2:3], v[6:7] op_sel:[0,0,1] op_sel_hi:[1,1,0] neg_lo:[0,0,1] neg_hi:[0,0,1]
	v_mov_b32_e32 v3, v23
	v_mov_b32_e32 v26, v22
	v_pk_add_f32 v[40:41], v[0:1], v[24:25]
	v_pk_add_f32 v[0:1], v[0:1], v[24:25] neg_lo:[0,1] neg_hi:[0,1]
	v_pk_add_f32 v[6:7], v[2:3], v[4:5]
	ds_write2_b64 v15, v[6:7], v[0:1] offset0:2 offset1:3
	v_pk_add_f32 v[0:1], v[26:27], v[28:29] neg_lo:[0,1] neg_hi:[0,1]
	v_pk_add_f32 v[2:3], v[2:3], v[4:5] neg_lo:[0,1] neg_hi:[0,1]
	ds_write2_b64 v15, v[0:1], v[2:3] offset0:4 offset1:5
	v_pk_add_f32 v[0:1], v[54:55], v[62:63]
	v_pk_add_f32 v[2:3], v[54:55], v[62:63] neg_lo:[0,1] neg_hi:[0,1]
	v_pk_fma_f32 v[0:1], v[0:1], 0.5, v[46:47] op_sel_hi:[1,0,1] neg_lo:[1,0,0] neg_hi:[1,0,0]
	v_pk_mul_f32 v[2:3], v[2:3], s[2:3] op_sel_hi:[1,0]
	v_pk_add_f32 v[6:7], v[58:59], v[66:67] neg_lo:[0,1] neg_hi:[0,1]
	v_pk_add_f32 v[4:5], v[0:1], v[2:3] op_sel:[0,1] op_sel_hi:[1,0]
	v_pk_add_f32 v[0:1], v[0:1], v[2:3] op_sel:[0,1] op_sel_hi:[1,0] neg_lo:[0,1] neg_hi:[0,1]
	v_pk_add_f32 v[2:3], v[58:59], v[66:67]
	v_pk_add_f32 v[42:43], v[26:27], v[28:29]
	v_pk_fma_f32 v[2:3], v[2:3], 0.5, v[50:51] op_sel_hi:[1,0,1] neg_lo:[1,0,0] neg_hi:[1,0,0]
	v_pk_add_f32 v[26:27], v[50:51], v[58:59]
	v_pk_fma_f32 v[22:23], v[6:7], s[2:3], v[2:3] op_sel:[0,0,1] op_sel_hi:[1,0,0]
	v_pk_fma_f32 v[2:3], v[6:7], s[2:3], v[2:3] op_sel:[0,0,1] op_sel_hi:[1,0,0] neg_lo:[1,0,0] neg_hi:[1,0,0]
	v_pk_mul_f32 v[6:7], v[22:23], s[6:7] op_sel:[1,0]
	v_pk_add_f32 v[26:27], v[26:27], v[66:67]
	v_pk_fma_f32 v[24:25], v[2:3], s[8:9], v[6:7]
	v_pk_fma_f32 v[6:7], v[2:3], s[8:9], v[6:7] op_sel_hi:[0,1,1] neg_lo:[0,0,1] neg_hi:[0,0,1]
	v_mul_i32_i24_e32 v2, 6, v16
	v_lshl_add_u32 v19, v2, 3, 0
	v_mov_b32_e32 v2, v22
	v_mov_b32_e32 v25, v7
	v_pk_add_f32 v[6:7], v[46:47], v[54:55]
	v_pk_mul_f32 v[22:23], v[2:3], 0.5 op_sel_hi:[1,0]
	v_pk_add_f32 v[6:7], v[6:7], v[62:63]
	v_mov_b32_e32 v29, v1
	v_pk_fma_f32 v[2:3], v[2:3], s[2:3], v[22:23] op_sel:[0,0,1] op_sel_hi:[1,1,0] neg_lo:[0,0,1] neg_hi:[0,0,1]
	v_mov_b32_e32 v1, v5
	ds_write2_b64 v15, v[40:41], v[42:43] offset1:1
	v_mov_b32_e32 v28, v4
	v_pk_add_f32 v[40:41], v[6:7], v[26:27]
	v_pk_add_f32 v[4:5], v[6:7], v[26:27] neg_lo:[0,1] neg_hi:[0,1]
	v_pk_add_f32 v[6:7], v[0:1], v[2:3]
	ds_write2_b64 v19, v[6:7], v[4:5] offset0:2 offset1:3
	v_pk_add_f32 v[6:7], v[28:29], v[24:25] neg_lo:[0,1] neg_hi:[0,1]
	v_pk_add_f32 v[0:1], v[0:1], v[2:3] neg_lo:[0,1] neg_hi:[0,1]
	ds_write2_b64 v19, v[6:7], v[0:1] offset0:4 offset1:5
	v_pk_add_f32 v[0:1], v[56:57], v[64:65]
	v_pk_add_f32 v[6:7], v[56:57], v[64:65] neg_lo:[0,1] neg_hi:[0,1]
	v_pk_add_f32 v[26:27], v[60:61], v[68:69]
	v_pk_add_f32 v[42:43], v[28:29], v[24:25]
	v_pk_fma_f32 v[0:1], v[0:1], 0.5, v[48:49] op_sel_hi:[1,0,1] neg_lo:[1,0,0] neg_hi:[1,0,0]
	v_pk_mul_f32 v[6:7], v[6:7], s[2:3] op_sel_hi:[1,0]
	v_pk_fma_f32 v[26:27], v[26:27], 0.5, v[52:53] op_sel_hi:[1,0,1] neg_lo:[1,0,0] neg_hi:[1,0,0]
	v_pk_add_f32 v[28:29], v[60:61], v[68:69] neg_lo:[0,1] neg_hi:[0,1]
	ds_write2_b64 v19, v[40:41], v[42:43] offset1:1
	v_pk_add_f32 v[24:25], v[0:1], v[6:7] op_sel:[0,1] op_sel_hi:[1,0]
	v_pk_add_f32 v[0:1], v[0:1], v[6:7] op_sel:[0,1] op_sel_hi:[1,0] neg_lo:[0,1] neg_hi:[0,1]
	v_pk_fma_f32 v[40:41], v[28:29], s[2:3], v[26:27] op_sel:[0,0,1] op_sel_hi:[1,0,0]
	v_mul_i32_i24_e32 v4, 6, v20
	v_mov_b32_e32 v6, v24
	v_mov_b32_e32 v7, v1
	v_pk_fma_f32 v[26:27], v[28:29], s[2:3], v[26:27] op_sel:[0,0,1] op_sel_hi:[1,0,0] neg_lo:[1,0,0] neg_hi:[1,0,0]
	v_mov_b32_e32 v1, v25
	v_pk_mul_f32 v[24:25], v[40:41], s[6:7] op_sel:[1,0]
	v_lshl_add_u32 v31, v4, 3, 0
	v_pk_add_f32 v[4:5], v[48:49], v[56:57]
	v_pk_add_f32 v[22:23], v[52:53], v[60:61]
	v_mov_b32_e32 v28, v40
	v_mov_b32_e32 v29, v27
	v_pk_fma_f32 v[40:41], v[26:27], s[8:9], v[24:25]
	v_pk_fma_f32 v[24:25], v[26:27], s[8:9], v[24:25] op_sel_hi:[0,1,1] neg_lo:[0,0,1] neg_hi:[0,0,1]
	v_pk_add_f32 v[4:5], v[4:5], v[64:65]
	v_pk_add_f32 v[22:23], v[22:23], v[68:69]
	v_pk_mul_f32 v[42:43], v[28:29], 0.5 op_sel_hi:[1,0]
	v_mov_b32_e32 v41, v25
	v_pk_add_f32 v[2:3], v[4:5], v[22:23]
	v_pk_fma_f32 v[28:29], v[28:29], s[2:3], v[42:43] op_sel:[0,0,1] op_sel_hi:[1,1,0] neg_lo:[0,0,1] neg_hi:[0,0,1]
	v_pk_add_f32 v[24:25], v[6:7], v[40:41]
	v_pk_add_f32 v[26:27], v[0:1], v[28:29]
	ds_write2_b64 v31, v[2:3], v[24:25] offset1:1
	v_pk_add_f32 v[2:3], v[4:5], v[22:23] neg_lo:[0,1] neg_hi:[0,1]
	ds_write2_b64 v31, v[26:27], v[2:3] offset0:2 offset1:3
	v_pk_add_f32 v[2:3], v[6:7], v[40:41] neg_lo:[0,1] neg_hi:[0,1]
	v_pk_add_f32 v[0:1], v[0:1], v[28:29] neg_lo:[0,1] neg_hi:[0,1]
	s_mov_b32 s6, 0xaaab
	ds_write2_b64 v31, v[2:3], v[0:1] offset0:4 offset1:5
	v_mul_u32_u24_sdwa v0, v16, s6 dst_sel:DWORD dst_unused:UNUSED_PAD src0_sel:WORD_0 src1_sel:DWORD
	v_lshrrev_b32_e32 v47, 18, v0
	v_mul_lo_u16_e32 v0, 6, v47
	v_sub_u16_e32 v48, v16, v0
	v_mul_u32_u24_e32 v0, 5, v48
	v_lshlrev_b32_e32 v22, 3, v0
	s_waitcnt lgkmcnt(0)
	s_barrier
	global_load_dwordx4 v[4:7], v22, s[4:5]
	v_mul_u32_u24_sdwa v0, v17, s6 dst_sel:DWORD dst_unused:UNUSED_PAD src0_sel:WORD_0 src1_sel:DWORD
	v_lshrrev_b32_e32 v49, 18, v0
	v_mul_lo_u16_e32 v0, 6, v49
	v_sub_u16_e32 v50, v17, v0
	v_mul_u32_u24_e32 v0, 5, v50
	v_lshlrev_b32_e32 v23, 3, v0
	global_load_dwordx4 v[0:3], v23, s[4:5]
	global_load_dwordx4 v[40:43], v22, s[4:5] offset:16
	global_load_dwordx4 v[52:55], v23, s[4:5] offset:16
	global_load_dwordx2 v[44:45], v22, s[4:5] offset:32
	global_load_dwordx2 v[76:77], v23, s[4:5] offset:32
	s_movk_i32 s7, 0xab
	v_mul_lo_u16_sdwa v22, v8, s7 dst_sel:DWORD dst_unused:UNUSED_PAD src0_sel:BYTE_0 src1_sel:DWORD
	v_lshrrev_b16_e32 v46, 10, v22
	v_mul_lo_u16_e32 v22, 6, v46
	v_sub_u16_e32 v51, v8, v22
	v_mov_b32_e32 v28, 5
	v_mul_u32_u24_sdwa v22, v51, v28 dst_sel:DWORD dst_unused:UNUSED_PAD src0_sel:BYTE_0 src1_sel:DWORD
	v_lshlrev_b32_e32 v29, 3, v22
	global_load_dwordx4 v[56:59], v29, s[4:5]
	v_mul_u32_u24_sdwa v22, v20, s6 dst_sel:DWORD dst_unused:UNUSED_PAD src0_sel:WORD_0 src1_sel:DWORD
	v_lshrrev_b32_e32 v126, 18, v22
	v_mul_lo_u16_e32 v22, 6, v126
	v_sub_u16_e32 v127, v20, v22
	v_mul_u32_u24_e32 v22, 5, v127
	v_lshlrev_b32_e32 v118, 3, v22
	global_load_dwordx4 v[60:63], v118, s[4:5]
	global_load_dwordx4 v[64:67], v29, s[4:5] offset:16
	v_add_u32_e32 v27, 0x1400, v30
	ds_read2_b64 v[68:71], v27 offset0:80 offset1:224
	v_add_u32_e32 v26, 0x2800, v30
	ds_read2_b64 v[72:75], v26 offset0:16 offset1:160
	global_load_dwordx2 v[78:79], v29, s[4:5] offset:32
	v_add_u32_e32 v29, 0x5c00, v30
	v_lshl_add_u32 v39, v18, 3, 0
	s_movk_i32 s6, 0xffd8
	s_waitcnt vmcnt(9) lgkmcnt(1)
	v_pk_mul_f32 v[24:25], v[70:71], v[4:5] op_sel:[0,1]
	s_nop 0
	v_pk_fma_f32 v[22:23], v[70:71], v[4:5], v[24:25] op_sel:[0,0,1] op_sel_hi:[1,1,0] neg_lo:[0,0,1] neg_hi:[0,0,1]
	v_pk_fma_f32 v[24:25], v[70:71], v[4:5], v[24:25] op_sel:[0,0,1] op_sel_hi:[1,0,0]
	v_mov_b32_e32 v4, v7
	s_waitcnt lgkmcnt(0)
	v_pk_mul_f32 v[70:71], v[74:75], v[4:5] op_sel_hi:[1,0]
	v_add_u32_e32 v24, 0x4c00, v30
	v_pk_fma_f32 v[4:5], v[74:75], v[6:7], v[70:71] op_sel:[0,0,1] op_sel_hi:[1,1,0] neg_lo:[0,0,1] neg_hi:[0,0,1]
	v_pk_fma_f32 v[6:7], v[74:75], v[6:7], v[70:71] op_sel:[0,0,1] op_sel_hi:[1,0,0]
	s_waitcnt vmcnt(8)
	v_pk_mul_f32 v[70:71], v[68:69], v[0:1] op_sel:[0,1]
	v_add_u32_e32 v6, 0x3800, v30
	v_pk_fma_f32 v[80:81], v[68:69], v[0:1], v[70:71] op_sel:[0,0,1] op_sel_hi:[1,1,0] neg_lo:[0,0,1] neg_hi:[0,0,1]
	v_pk_fma_f32 v[82:83], v[68:69], v[0:1], v[70:71] op_sel:[0,0,1] op_sel_hi:[1,0,0]
	v_mov_b32_e32 v0, v3
	v_pk_mul_f32 v[0:1], v[72:73], v[0:1] op_sel_hi:[1,0]
	ds_read2_b64 v[68:71], v6 offset0:80 offset1:224
	v_pk_fma_f32 v[84:85], v[72:73], v[2:3], v[0:1] op_sel:[0,0,1] op_sel_hi:[1,1,0] neg_lo:[0,0,1] neg_hi:[0,0,1]
	v_pk_fma_f32 v[2:3], v[72:73], v[2:3], v[0:1] op_sel:[0,0,1] op_sel_hi:[1,0,0]
	ds_read2_b64 v[72:75], v24 offset0:16 offset1:160
	s_waitcnt vmcnt(7)
	v_mov_b32_e32 v2, v43
	s_waitcnt lgkmcnt(1)
	v_pk_mul_f32 v[86:87], v[70:71], v[40:41] op_sel:[0,1]
	v_mov_b32_e32 v85, v3
	v_pk_fma_f32 v[0:1], v[70:71], v[40:41], v[86:87] op_sel:[0,0,1] op_sel_hi:[1,1,0] neg_lo:[0,0,1] neg_hi:[0,0,1]
	v_pk_fma_f32 v[70:71], v[70:71], v[40:41], v[86:87] op_sel:[0,0,1] op_sel_hi:[1,0,0]
	s_waitcnt lgkmcnt(0)
	v_pk_mul_f32 v[40:41], v[74:75], v[2:3] op_sel_hi:[1,0]
	s_waitcnt vmcnt(6)
	v_mov_b32_e32 v2, v55
	v_pk_fma_f32 v[86:87], v[74:75], v[42:43], v[40:41] op_sel:[0,0,1] op_sel_hi:[1,1,0] neg_lo:[0,0,1] neg_hi:[0,0,1]
	v_pk_fma_f32 v[74:75], v[74:75], v[42:43], v[40:41] op_sel:[0,0,1] op_sel_hi:[1,0,0]
	v_pk_mul_f32 v[40:41], v[68:69], v[52:53] op_sel:[0,1]
	v_add_u32_e32 v1, 0x4200, v30
	v_pk_fma_f32 v[88:89], v[68:69], v[52:53], v[40:41] op_sel:[0,0,1] op_sel_hi:[1,1,0] neg_lo:[0,0,1] neg_hi:[0,0,1]
	v_pk_fma_f32 v[68:69], v[68:69], v[52:53], v[40:41] op_sel:[0,0,1] op_sel_hi:[1,0,0]
	ds_read2_b64 v[40:43], v29 offset0:80 offset1:224
	v_pk_mul_f32 v[52:53], v[72:73], v[2:3] op_sel_hi:[1,0]
	s_waitcnt vmcnt(2)
	v_mov_b32_e32 v2, v63
	v_pk_fma_f32 v[90:91], v[72:73], v[54:55], v[52:53] op_sel:[0,0,1] op_sel_hi:[1,1,0] neg_lo:[0,0,1] neg_hi:[0,0,1]
	v_pk_fma_f32 v[72:73], v[72:73], v[54:55], v[52:53] op_sel:[0,0,1] op_sel_hi:[1,0,0]
	s_waitcnt lgkmcnt(0)
	v_pk_mul_f32 v[52:53], v[42:43], v[44:45] op_sel:[0,1]
	v_mov_b32_e32 v91, v73
	v_pk_fma_f32 v[92:93], v[42:43], v[44:45], v[52:53] op_sel:[0,0,1] op_sel_hi:[1,1,0] neg_lo:[0,0,1] neg_hi:[0,0,1]
	v_pk_fma_f32 v[94:95], v[42:43], v[44:45], v[52:53] op_sel:[0,0,1] op_sel_hi:[1,0,0]
	v_pk_mul_f32 v[42:43], v[40:41], v[76:77] op_sel:[0,1]
	v_mov_b32_e32 v89, v69
	v_pk_fma_f32 v[96:97], v[40:41], v[76:77], v[42:43] op_sel:[0,0,1] op_sel_hi:[1,1,0] neg_lo:[0,0,1] neg_hi:[0,0,1]
	v_pk_fma_f32 v[76:77], v[40:41], v[76:77], v[42:43] op_sel:[0,0,1] op_sel_hi:[1,0,0]
	v_add_u32_e32 v43, 0x1e00, v30
	ds_read2_b64 v[52:55], v43 offset0:48 offset1:192
	ds_read_b64 v[44:45], v39
	v_mad_i32_i24 v40, v12, s6, v15
	ds_read_b64 v[98:99], v40
	ds_read_b64 v[100:101], v30 offset:26496
	v_mad_i32_i24 v41, v20, s6, v31
	s_waitcnt lgkmcnt(3)
	v_pk_mul_f32 v[108:109], v[52:53], v[60:61] op_sel:[0,1]
	s_waitcnt lgkmcnt(2)
	v_pk_mul_f32 v[102:103], v[56:57], v[44:45] op_sel:[0,1]
	v_pk_fma_f32 v[110:111], v[52:53], v[60:61], v[108:109] op_sel:[0,0,1] op_sel_hi:[1,1,0] neg_lo:[0,0,1] neg_hi:[0,0,1]
	v_pk_fma_f32 v[104:105], v[56:57], v[44:45], v[102:103] op_sel:[0,0,1] op_sel_hi:[1,1,0] neg_lo:[0,0,1] neg_hi:[0,0,1]
	v_pk_fma_f32 v[102:103], v[56:57], v[44:45], v[102:103] op_sel:[0,0,1] op_sel_hi:[1,0,0]
	v_pk_mul_f32 v[44:45], v[58:59], v[54:55] op_sel:[0,1]
	v_pk_fma_f32 v[60:61], v[52:53], v[60:61], v[108:109] op_sel:[0,0,1] op_sel_hi:[1,0,0]
	v_pk_fma_f32 v[106:107], v[58:59], v[54:55], v[44:45] op_sel:[0,0,1] op_sel_hi:[1,1,0] neg_lo:[0,0,1] neg_hi:[0,0,1]
	v_pk_fma_f32 v[58:59], v[58:59], v[54:55], v[44:45] op_sel:[0,0,1] op_sel_hi:[1,0,0]
	v_add_u32_e32 v44, 0x3000, v30
	ds_read2_b64 v[54:57], v44 offset0:48 offset1:192
	v_add_u32_e32 v45, 0x5400, v30
	v_mov_b32_e32 v107, v59
	v_mov_b32_e32 v105, v103
	v_mad_i32_i24 v42, v16, s6, v19
	s_waitcnt lgkmcnt(0)
	v_pk_mul_f32 v[52:53], v[54:55], v[2:3] op_sel_hi:[1,0]
	s_waitcnt vmcnt(1)
	v_pk_mul_f32 v[112:113], v[56:57], v[64:65] op_sel:[0,1]
	v_pk_fma_f32 v[108:109], v[54:55], v[62:63], v[52:53] op_sel:[0,0,1] op_sel_hi:[1,1,0] neg_lo:[0,0,1] neg_hi:[0,0,1]
	v_pk_fma_f32 v[62:63], v[54:55], v[62:63], v[52:53] op_sel:[0,0,1] op_sel_hi:[1,0,0]
	ds_read2_b64 v[52:55], v1 offset0:48 offset1:192
	v_mov_b32_e32 v2, v67
	v_pk_fma_f32 v[114:115], v[56:57], v[64:65], v[112:113] op_sel:[0,0,1] op_sel_hi:[1,1,0] neg_lo:[0,0,1] neg_hi:[0,0,1]
	v_pk_fma_f32 v[64:65], v[56:57], v[64:65], v[112:113] op_sel:[0,0,1] op_sel_hi:[1,0,0]
	v_mul_u32_u24_e32 v1, 0x120, v46
	s_waitcnt lgkmcnt(0)
	v_pk_mul_f32 v[56:57], v[54:55], v[2:3] op_sel_hi:[1,0]
	v_mov_b32_e32 v115, v65
	v_pk_fma_f32 v[112:113], v[54:55], v[66:67], v[56:57] op_sel:[0,0,1] op_sel_hi:[1,1,0] neg_lo:[0,0,1] neg_hi:[0,0,1]
	v_pk_fma_f32 v[66:67], v[54:55], v[66:67], v[56:57] op_sel:[0,0,1] op_sel_hi:[1,0,0]
	global_load_dwordx4 v[54:57], v118, s[4:5] offset:16
	global_load_dwordx2 v[116:117], v118, s[4:5] offset:32
	v_mov_b32_e32 v113, v67
	v_pk_add_f32 v[58:59], v[106:107], v[112:113] neg_lo:[0,1] neg_hi:[0,1]
	v_mov_b32_e32 v46, 3
	v_pk_mul_f32 v[58:59], v[58:59], s[2:3] op_sel_hi:[1,0]
	v_pk_add_f32 v[66:67], v[104:105], v[114:115]
	v_mov_b32_e32 v97, v77
	v_mov_b32_e32 v81, v83
	;; [unrolled: 1-line block ×6, first 2 shown]
	s_mov_b32 s6, 0xe38f
	s_waitcnt vmcnt(1)
	v_pk_mul_f32 v[118:119], v[52:53], v[54:55] op_sel:[0,1]
	s_nop 0
	v_pk_fma_f32 v[120:121], v[52:53], v[54:55], v[118:119] op_sel:[0,0,1] op_sel_hi:[1,1,0] neg_lo:[0,0,1] neg_hi:[0,0,1]
	v_pk_fma_f32 v[118:119], v[52:53], v[54:55], v[118:119] op_sel:[0,0,1] op_sel_hi:[1,0,0]
	ds_read2_b64 v[52:55], v45 offset0:48 offset1:192
	v_mov_b32_e32 v2, v57
	v_mov_b32_e32 v121, v119
	s_waitcnt lgkmcnt(0)
	v_pk_mul_f32 v[122:123], v[52:53], v[2:3] op_sel_hi:[1,0]
	s_nop 0
	v_pk_fma_f32 v[124:125], v[52:53], v[56:57], v[122:123] op_sel:[0,0,1] op_sel_hi:[1,1,0] neg_lo:[0,0,1] neg_hi:[0,0,1]
	v_pk_fma_f32 v[52:53], v[52:53], v[56:57], v[122:123] op_sel:[0,0,1] op_sel_hi:[1,0,0]
	v_pk_mul_f32 v[56:57], v[54:55], v[78:79] op_sel:[0,1]
	v_lshlrev_b32_sdwa v2, v46, v51 dst_sel:DWORD dst_unused:UNUSED_PAD src0_sel:DWORD src1_sel:BYTE_0
	v_pk_fma_f32 v[122:123], v[54:55], v[78:79], v[56:57] op_sel:[0,0,1] op_sel_hi:[1,1,0] neg_lo:[0,0,1] neg_hi:[0,0,1]
	v_pk_fma_f32 v[54:55], v[54:55], v[78:79], v[56:57] op_sel:[0,0,1] op_sel_hi:[1,0,0]
	ds_read_b64 v[56:57], v30
	v_mov_b32_e32 v123, v55
	v_pk_add_f32 v[54:55], v[106:107], v[112:113]
	v_pk_add_f32 v[78:79], v[114:115], v[122:123] neg_lo:[0,1] neg_hi:[0,1]
	v_add3_u32 v1, 0, v1, v2
	s_waitcnt lgkmcnt(0)
	v_pk_fma_f32 v[54:55], v[54:55], 0.5, v[56:57] op_sel_hi:[1,0,1] neg_lo:[1,0,0] neg_hi:[1,0,0]
	v_pk_add_f32 v[56:57], v[56:57], v[106:107]
	v_pk_add_f32 v[64:65], v[58:59], v[54:55] op_sel:[1,0] op_sel_hi:[0,1]
	v_pk_add_f32 v[54:55], v[54:55], v[58:59] op_sel:[0,1] op_sel_hi:[1,0] neg_lo:[0,1] neg_hi:[0,1]
	v_pk_add_f32 v[58:59], v[114:115], v[122:123]
	v_pk_add_f32 v[56:57], v[56:57], v[112:113]
	v_pk_fma_f32 v[58:59], v[58:59], 0.5, v[104:105] op_sel_hi:[1,0,1] neg_lo:[1,0,0] neg_hi:[1,0,0]
	v_pk_add_f32 v[66:67], v[66:67], v[122:123]
	v_pk_fma_f32 v[102:103], v[78:79], s[2:3], v[58:59] op_sel:[0,0,1] op_sel_hi:[1,0,0]
	v_pk_fma_f32 v[58:59], v[78:79], s[2:3], v[58:59] op_sel:[0,0,1] op_sel_hi:[1,0,0] neg_lo:[1,0,0] neg_hi:[1,0,0]
	v_mul_f32_e32 v5, 0xbf5db3d7, v103
	v_mul_f32_e32 v2, 0x3f5db3d7, v58
	v_fmac_f32_e32 v5, 0.5, v58
	v_mov_b32_e32 v58, v102
	v_fmac_f32_e32 v2, 0.5, v103
	v_pk_mul_f32 v[102:103], v[58:59], 0.5 op_sel_hi:[1,0]
	v_pk_add_f32 v[112:113], v[56:57], v[66:67]
	v_pk_fma_f32 v[58:59], v[58:59], s[2:3], v[102:103] op_sel:[0,0,1] op_sel_hi:[1,1,0] neg_lo:[0,0,1] neg_hi:[0,0,1]
	v_pk_add_f32 v[56:57], v[56:57], v[66:67] neg_lo:[0,1] neg_hi:[0,1]
	v_mov_b32_e32 v66, v54
	v_mov_b32_e32 v67, v65
	v_pk_add_f32 v[102:103], v[66:67], v[58:59]
	ds_read_b64 v[78:79], v41
	ds_read_b64 v[104:105], v42
	s_waitcnt lgkmcnt(0)
	s_barrier
	v_add_f32_e32 v107, v55, v5
	ds_write2_b64 v1, v[102:103], v[56:57] offset0:12 offset1:18
	v_sub_f32_e32 v54, v64, v2
	v_sub_f32_e32 v55, v55, v5
	v_pk_add_f32 v[56:57], v[66:67], v[58:59] neg_lo:[0,1] neg_hi:[0,1]
	v_add_f32_e32 v106, v64, v2
	ds_write2_b64 v1, v[54:55], v[56:57] offset0:24 offset1:30
	v_pk_add_f32 v[2:3], v[84:85], v[90:91]
	v_pk_add_f32 v[56:57], v[84:85], v[90:91] neg_lo:[0,1] neg_hi:[0,1]
	v_pk_fma_f32 v[2:3], v[2:3], 0.5, v[98:99] op_sel_hi:[1,0,1] neg_lo:[1,0,0] neg_hi:[1,0,0]
	v_pk_mul_f32 v[56:57], v[56:57], s[2:3] op_sel_hi:[1,0]
	v_pk_add_f32 v[66:67], v[88:89], v[96:97] neg_lo:[0,1] neg_hi:[0,1]
	v_pk_add_f32 v[58:59], v[56:57], v[2:3] op_sel:[1,0] op_sel_hi:[0,1]
	v_pk_add_f32 v[2:3], v[2:3], v[56:57] op_sel:[0,1] op_sel_hi:[1,0] neg_lo:[0,1] neg_hi:[0,1]
	v_pk_add_f32 v[56:57], v[88:89], v[96:97]
	ds_write2_b64 v1, v[112:113], v[106:107] offset1:6
	v_pk_fma_f32 v[56:57], v[56:57], 0.5, v[80:81] op_sel_hi:[1,0,1] neg_lo:[1,0,0] neg_hi:[1,0,0]
	v_mul_u32_u24_e32 v1, 0x120, v49
	v_pk_fma_f32 v[68:69], v[66:67], s[2:3], v[56:57] op_sel:[0,0,1] op_sel_hi:[1,0,0]
	v_pk_fma_f32 v[56:57], v[66:67], s[2:3], v[56:57] op_sel:[0,0,1] op_sel_hi:[1,0,0] neg_lo:[1,0,0] neg_hi:[1,0,0]
	v_lshlrev_b32_e32 v5, 3, v50
	v_pk_add_f32 v[54:55], v[98:99], v[84:85]
	v_pk_add_f32 v[64:65], v[80:81], v[88:89]
	v_add3_u32 v1, 0, v1, v5
	v_mul_f32_e32 v5, 0x3f5db3d7, v56
	v_mul_f32_e32 v23, 0xbf5db3d7, v69
	v_pk_add_f32 v[54:55], v[54:55], v[90:91]
	v_pk_add_f32 v[64:65], v[64:65], v[96:97]
	v_fmac_f32_e32 v5, 0.5, v69
	v_fmac_f32_e32 v23, 0.5, v56
	v_add_f32_e32 v50, v58, v5
	v_add_f32_e32 v51, v3, v23
	v_pk_add_f32 v[66:67], v[54:55], v[64:65]
	v_mov_b32_e32 v56, v68
	ds_write2_b64 v1, v[66:67], v[50:51] offset1:6
	v_pk_mul_f32 v[50:51], v[56:57], 0.5 op_sel_hi:[1,0]
	v_pk_add_f32 v[54:55], v[54:55], v[64:65] neg_lo:[0,1] neg_hi:[0,1]
	v_pk_fma_f32 v[50:51], v[56:57], s[2:3], v[50:51] op_sel:[0,0,1] op_sel_hi:[1,1,0] neg_lo:[0,0,1] neg_hi:[0,0,1]
	v_mov_b32_e32 v56, v2
	v_mov_b32_e32 v57, v59
	v_pk_add_f32 v[64:65], v[56:57], v[50:51]
	v_sub_f32_e32 v2, v58, v5
	v_mov_b32_e32 v5, v7
	ds_write2_b64 v1, v[64:65], v[54:55] offset0:12 offset1:18
	v_sub_f32_e32 v3, v3, v23
	v_pk_add_f32 v[50:51], v[56:57], v[50:51] neg_lo:[0,1] neg_hi:[0,1]
	v_pk_add_f32 v[54:55], v[4:5], v[86:87]
	v_pk_add_f32 v[56:57], v[104:105], v[4:5]
	v_pk_add_f32 v[4:5], v[4:5], v[86:87] neg_lo:[0,1] neg_hi:[0,1]
	ds_write2_b64 v1, v[2:3], v[50:51] offset0:24 offset1:30
	v_mov_b32_e32 v1, v71
	v_pk_fma_f32 v[54:55], v[54:55], 0.5, v[104:105] op_sel_hi:[1,0,1] neg_lo:[1,0,0] neg_hi:[1,0,0]
	v_pk_mul_f32 v[4:5], v[4:5], s[2:3] op_sel_hi:[1,0]
	s_waitcnt vmcnt(0)
	v_pk_mul_f32 v[2:3], v[100:101], v[116:117] op_sel:[0,1]
	v_mov_b32_e32 v23, v25
	v_pk_add_f32 v[58:59], v[4:5], v[54:55] op_sel:[1,0] op_sel_hi:[0,1]
	v_pk_add_f32 v[4:5], v[54:55], v[4:5] op_sel:[0,1] op_sel_hi:[1,0] neg_lo:[0,1] neg_hi:[0,1]
	v_pk_add_f32 v[54:55], v[0:1], v[92:93]
	v_pk_fma_f32 v[50:51], v[100:101], v[116:117], v[2:3] op_sel:[0,0,1] op_sel_hi:[1,1,0] neg_lo:[0,0,1] neg_hi:[0,0,1]
	v_pk_fma_f32 v[2:3], v[100:101], v[116:117], v[2:3] op_sel:[0,0,1] op_sel_hi:[1,0,0]
	v_pk_fma_f32 v[54:55], v[54:55], 0.5, v[22:23] op_sel_hi:[1,0,1] neg_lo:[1,0,0] neg_hi:[1,0,0]
	v_pk_add_f32 v[22:23], v[22:23], v[0:1]
	v_pk_add_f32 v[0:1], v[0:1], v[92:93] neg_lo:[0,1] neg_hi:[0,1]
	v_mul_u32_u24_e32 v2, 0x120, v47
	v_pk_fma_f32 v[64:65], v[0:1], s[2:3], v[54:55] op_sel:[0,0,1] op_sel_hi:[1,0,0]
	v_pk_fma_f32 v[0:1], v[0:1], s[2:3], v[54:55] op_sel:[0,0,1] op_sel_hi:[1,0,0] neg_lo:[1,0,0] neg_hi:[1,0,0]
	v_lshlrev_b32_e32 v7, 3, v48
	v_add3_u32 v7, 0, v2, v7
	v_mul_f32_e32 v2, 0x3f5db3d7, v0
	v_mul_f32_e32 v25, 0xbf5db3d7, v65
	v_pk_add_f32 v[56:57], v[56:57], v[86:87]
	v_pk_add_f32 v[22:23], v[22:23], v[92:93]
	v_fmac_f32_e32 v2, 0.5, v65
	v_fmac_f32_e32 v25, 0.5, v0
	v_add_f32_e32 v48, v58, v2
	v_add_f32_e32 v49, v5, v25
	v_pk_add_f32 v[54:55], v[56:57], v[22:23]
	v_mov_b32_e32 v0, v64
	ds_write2_b64 v7, v[54:55], v[48:49] offset1:6
	v_pk_mul_f32 v[48:49], v[0:1], 0.5 op_sel_hi:[1,0]
	v_sub_f32_e32 v5, v5, v25
	v_pk_fma_f32 v[0:1], v[0:1], s[2:3], v[48:49] op_sel:[0,0,1] op_sel_hi:[1,1,0] neg_lo:[0,0,1] neg_hi:[0,0,1]
	v_mov_b32_e32 v48, v4
	v_mov_b32_e32 v49, v59
	v_pk_add_f32 v[54:55], v[48:49], v[0:1]
	v_sub_f32_e32 v4, v58, v2
	v_mov_b32_e32 v125, v53
	v_pk_add_f32 v[0:1], v[48:49], v[0:1] neg_lo:[0,1] neg_hi:[0,1]
	ds_write2_b64 v7, v[4:5], v[0:1] offset0:24 offset1:30
	v_pk_add_f32 v[4:5], v[108:109], v[124:125]
	v_pk_add_f32 v[48:49], v[108:109], v[124:125] neg_lo:[0,1] neg_hi:[0,1]
	v_mov_b32_e32 v51, v3
	v_pk_fma_f32 v[4:5], v[4:5], 0.5, v[78:79] op_sel_hi:[1,0,1] neg_lo:[1,0,0] neg_hi:[1,0,0]
	v_pk_mul_f32 v[48:49], v[48:49], s[2:3] op_sel_hi:[1,0]
	v_pk_add_f32 v[0:1], v[110:111], v[120:121]
	v_pk_add_f32 v[52:53], v[48:49], v[4:5] op_sel:[1,0] op_sel_hi:[0,1]
	v_pk_add_f32 v[4:5], v[4:5], v[48:49] op_sel:[0,1] op_sel_hi:[1,0] neg_lo:[0,1] neg_hi:[0,1]
	v_pk_add_f32 v[48:49], v[120:121], v[50:51]
	v_pk_add_f32 v[0:1], v[0:1], v[50:51]
	v_pk_fma_f32 v[48:49], v[48:49], 0.5, v[110:111] op_sel_hi:[1,0,1] neg_lo:[1,0,0] neg_hi:[1,0,0]
	v_pk_add_f32 v[50:51], v[120:121], v[50:51] neg_lo:[0,1] neg_hi:[0,1]
	v_pk_add_f32 v[22:23], v[56:57], v[22:23] neg_lo:[0,1] neg_hi:[0,1]
	v_pk_fma_f32 v[56:57], v[50:51], s[2:3], v[48:49] op_sel:[0,0,1] op_sel_hi:[1,0,0]
	v_pk_fma_f32 v[48:49], v[50:51], s[2:3], v[48:49] op_sel:[0,0,1] op_sel_hi:[1,0,0] neg_lo:[1,0,0] neg_hi:[1,0,0]
	ds_write2_b64 v7, v[54:55], v[22:23] offset0:12 offset1:18
	v_mul_u32_u24_e32 v2, 0x120, v126
	v_lshlrev_b32_e32 v3, 3, v127
	v_mov_b32_e32 v50, v56
	v_mov_b32_e32 v51, v49
	v_mul_f32_e32 v7, 0xbf5db3d7, v57
	v_add3_u32 v25, 0, v2, v3
	v_pk_add_f32 v[2:3], v[78:79], v[108:109]
	v_mov_b32_e32 v54, v4
	v_mul_f32_e32 v4, 0x3f5db3d7, v48
	v_fmac_f32_e32 v7, 0.5, v48
	v_pk_mul_f32 v[48:49], v[50:51], 0.5 op_sel_hi:[1,0]
	v_pk_add_f32 v[2:3], v[2:3], v[124:125]
	v_mov_b32_e32 v55, v53
	v_fmac_f32_e32 v4, 0.5, v57
	v_pk_fma_f32 v[48:49], v[50:51], s[2:3], v[48:49] op_sel:[0,0,1] op_sel_hi:[1,1,0] neg_lo:[0,0,1] neg_hi:[0,0,1]
	v_pk_add_f32 v[22:23], v[2:3], v[0:1]
	v_add_f32_e32 v50, v52, v4
	v_sub_f32_e32 v4, v52, v4
	v_pk_add_f32 v[52:53], v[54:55], v[48:49]
	v_pk_add_f32 v[0:1], v[2:3], v[0:1] neg_lo:[0,1] neg_hi:[0,1]
	v_add_f32_e32 v51, v5, v7
	v_sub_f32_e32 v5, v5, v7
	ds_write2_b64 v25, v[52:53], v[0:1] offset0:12 offset1:18
	v_pk_add_f32 v[0:1], v[54:55], v[48:49] neg_lo:[0,1] neg_hi:[0,1]
	ds_write2_b64 v25, v[4:5], v[0:1] offset0:24 offset1:30
	v_mul_u32_u24_sdwa v0, v16, s6 dst_sel:DWORD dst_unused:UNUSED_PAD src0_sel:WORD_0 src1_sel:DWORD
	v_lshrrev_b32_e32 v118, 21, v0
	v_mul_lo_u16_e32 v0, 36, v118
	v_sub_u16_e32 v7, v16, v0
	v_mul_u32_u24_e32 v0, 5, v7
	v_lshlrev_b32_e32 v4, 3, v0
	ds_write2_b64 v25, v[22:23], v[50:51] offset1:6
	s_waitcnt lgkmcnt(0)
	s_barrier
	global_load_dwordx4 v[0:3], v4, s[4:5] offset:240
	v_mul_u32_u24_sdwa v5, v17, s6 dst_sel:DWORD dst_unused:UNUSED_PAD src0_sel:WORD_0 src1_sel:DWORD
	v_lshrrev_b32_e32 v119, 21, v5
	v_mul_lo_u16_e32 v5, 36, v119
	v_sub_u16_e32 v17, v17, v5
	v_mul_u32_u24_e32 v5, 5, v17
	v_lshlrev_b32_e32 v5, 3, v5
	global_load_dwordx4 v[48:51], v5, s[4:5] offset:240
	global_load_dwordx4 v[52:55], v4, s[4:5] offset:256
	;; [unrolled: 1-line block ×3, first 2 shown]
	global_load_dwordx2 v[84:85], v4, s[4:5] offset:272
	global_load_dwordx2 v[86:87], v5, s[4:5] offset:272
	v_mov_b32_e32 v4, 57
	v_mul_lo_u16_sdwa v4, v8, v4 dst_sel:DWORD dst_unused:UNUSED_PAD src0_sel:BYTE_0 src1_sel:DWORD
	v_lshrrev_b16_e32 v47, 11, v4
	v_mul_lo_u16_e32 v4, 36, v47
	v_sub_u16_e32 v120, v8, v4
	v_mul_u32_u24_sdwa v4, v120, v28 dst_sel:DWORD dst_unused:UNUSED_PAD src0_sel:BYTE_0 src1_sel:DWORD
	v_lshlrev_b32_e32 v4, 3, v4
	global_load_dwordx4 v[60:63], v4, s[4:5] offset:240
	v_mul_u32_u24_sdwa v5, v20, s6 dst_sel:DWORD dst_unused:UNUSED_PAD src0_sel:WORD_0 src1_sel:DWORD
	v_lshrrev_b32_e32 v121, 21, v5
	v_mul_lo_u16_e32 v5, 36, v121
	v_sub_u16_e32 v122, v20, v5
	v_mul_u32_u24_e32 v5, 5, v122
	v_lshlrev_b32_e32 v114, 3, v5
	global_load_dwordx4 v[64:67], v114, s[4:5] offset:240
	global_load_dwordx4 v[68:71], v4, s[4:5] offset:256
	;; [unrolled: 1-line block ×3, first 2 shown]
	global_load_dwordx2 v[88:89], v4, s[4:5] offset:272
	ds_read2_b64 v[76:79], v27 offset0:80 offset1:224
	ds_read2_b64 v[80:83], v26 offset0:16 offset1:160
	s_mov_b32 s6, 0x5040100
	s_waitcnt vmcnt(10) lgkmcnt(1)
	v_pk_mul_f32 v[22:23], v[78:79], v[0:1] op_sel:[0,1]
	s_nop 0
	v_pk_fma_f32 v[4:5], v[78:79], v[0:1], v[22:23] op_sel:[0,0,1] op_sel_hi:[1,1,0] neg_lo:[0,0,1] neg_hi:[0,0,1]
	v_pk_fma_f32 v[26:27], v[78:79], v[0:1], v[22:23] op_sel:[0,0,1] op_sel_hi:[1,0,0]
	v_mov_b32_e32 v0, v3
	s_waitcnt lgkmcnt(0)
	v_pk_mul_f32 v[0:1], v[82:83], v[0:1] op_sel_hi:[1,0]
	s_waitcnt vmcnt(9)
	v_mov_b32_e32 v22, v51
	v_pk_fma_f32 v[78:79], v[82:83], v[2:3], v[0:1] op_sel:[0,0,1] op_sel_hi:[1,1,0] neg_lo:[0,0,1] neg_hi:[0,0,1]
	v_pk_fma_f32 v[82:83], v[82:83], v[2:3], v[0:1] op_sel:[0,0,1] op_sel_hi:[1,0,0]
	v_pk_mul_f32 v[0:1], v[76:77], v[48:49] op_sel:[0,1]
	v_pk_mul_f32 v[22:23], v[80:81], v[22:23] op_sel_hi:[1,0]
	v_pk_fma_f32 v[90:91], v[76:77], v[48:49], v[0:1] op_sel:[0,0,1] op_sel_hi:[1,1,0] neg_lo:[0,0,1] neg_hi:[0,0,1]
	v_pk_fma_f32 v[48:49], v[76:77], v[48:49], v[0:1] op_sel:[0,0,1] op_sel_hi:[1,0,0]
	ds_read2_b64 v[0:3], v6 offset0:80 offset1:224
	v_pk_fma_f32 v[76:77], v[80:81], v[50:51], v[22:23] op_sel:[0,0,1] op_sel_hi:[1,1,0] neg_lo:[0,0,1] neg_hi:[0,0,1]
	v_pk_fma_f32 v[50:51], v[80:81], v[50:51], v[22:23] op_sel:[0,0,1] op_sel_hi:[1,0,0]
	ds_read2_b64 v[22:25], v24 offset0:16 offset1:160
	s_waitcnt vmcnt(7)
	v_mov_b32_e32 v6, v59
	s_waitcnt lgkmcnt(1)
	v_pk_mul_f32 v[80:81], v[2:3], v[52:53] op_sel:[0,1]
	v_mul_u32_u24_e32 v5, 0x6c0, v47
	v_pk_fma_f32 v[92:93], v[2:3], v[52:53], v[80:81] op_sel:[0,0,1] op_sel_hi:[1,1,0] neg_lo:[0,0,1] neg_hi:[0,0,1]
	v_pk_fma_f32 v[52:53], v[2:3], v[52:53], v[80:81] op_sel:[0,0,1] op_sel_hi:[1,0,0]
	v_mov_b32_e32 v2, v55
	s_waitcnt lgkmcnt(0)
	v_pk_mul_f32 v[2:3], v[24:25], v[2:3] op_sel_hi:[1,0]
	v_mov_b32_e32 v77, v51
	v_pk_fma_f32 v[80:81], v[24:25], v[54:55], v[2:3] op_sel:[0,0,1] op_sel_hi:[1,1,0] neg_lo:[0,0,1] neg_hi:[0,0,1]
	v_pk_fma_f32 v[54:55], v[24:25], v[54:55], v[2:3] op_sel:[0,0,1] op_sel_hi:[1,0,0]
	v_pk_mul_f32 v[2:3], v[0:1], v[56:57] op_sel:[0,1]
	v_pk_mul_f32 v[24:25], v[22:23], v[6:7] op_sel_hi:[1,0]
	v_pk_fma_f32 v[94:95], v[0:1], v[56:57], v[2:3] op_sel:[0,0,1] op_sel_hi:[1,1,0] neg_lo:[0,0,1] neg_hi:[0,0,1]
	v_pk_fma_f32 v[56:57], v[0:1], v[56:57], v[2:3] op_sel:[0,0,1] op_sel_hi:[1,0,0]
	ds_read2_b64 v[0:3], v29 offset0:80 offset1:224
	v_pk_fma_f32 v[28:29], v[22:23], v[58:59], v[24:25] op_sel:[0,0,1] op_sel_hi:[1,1,0] neg_lo:[0,0,1] neg_hi:[0,0,1]
	v_pk_fma_f32 v[58:59], v[22:23], v[58:59], v[24:25] op_sel:[0,0,1] op_sel_hi:[1,0,0]
	s_waitcnt vmcnt(1)
	v_mov_b32_e32 v6, v75
	v_mov_b32_e32 v29, v59
	s_waitcnt lgkmcnt(0)
	v_pk_mul_f32 v[22:23], v[2:3], v[84:85] op_sel:[0,1]
	v_mov_b32_e32 v95, v57
	v_pk_fma_f32 v[96:97], v[2:3], v[84:85], v[22:23] op_sel:[0,0,1] op_sel_hi:[1,1,0] neg_lo:[0,0,1] neg_hi:[0,0,1]
	v_pk_fma_f32 v[84:85], v[2:3], v[84:85], v[22:23] op_sel:[0,0,1] op_sel_hi:[1,0,0]
	v_pk_mul_f32 v[2:3], v[0:1], v[86:87] op_sel:[0,1]
	ds_read_b64 v[22:23], v39
	v_pk_fma_f32 v[98:99], v[0:1], v[86:87], v[2:3] op_sel:[0,0,1] op_sel_hi:[1,1,0] neg_lo:[0,0,1] neg_hi:[0,0,1]
	v_pk_fma_f32 v[86:87], v[0:1], v[86:87], v[2:3] op_sel:[0,0,1] op_sel_hi:[1,0,0]
	ds_read2_b64 v[0:3], v43 offset0:48 offset1:192
	ds_read_b64 v[100:101], v30 offset:26496
	global_load_dwordx2 v[114:115], v114, s[4:5] offset:272
	s_waitcnt lgkmcnt(2)
	v_pk_mul_f32 v[24:25], v[60:61], v[22:23] op_sel:[0,1]
	ds_read_b64 v[112:113], v30
	v_pk_fma_f32 v[102:103], v[60:61], v[22:23], v[24:25] op_sel:[0,0,1] op_sel_hi:[1,1,0] neg_lo:[0,0,1] neg_hi:[0,0,1]
	v_pk_fma_f32 v[60:61], v[60:61], v[22:23], v[24:25] op_sel:[0,0,1] op_sel_hi:[1,0,0]
	s_waitcnt lgkmcnt(2)
	v_pk_mul_f32 v[22:23], v[62:63], v[2:3] op_sel:[0,1]
	v_mov_b32_e32 v103, v61
	v_pk_fma_f32 v[104:105], v[62:63], v[2:3], v[22:23] op_sel:[0,0,1] op_sel_hi:[1,1,0] neg_lo:[0,0,1] neg_hi:[0,0,1]
	v_pk_fma_f32 v[62:63], v[62:63], v[2:3], v[22:23] op_sel:[0,0,1] op_sel_hi:[1,0,0]
	ds_read2_b64 v[22:25], v44 offset0:48 offset1:192
	v_pk_mul_f32 v[2:3], v[0:1], v[64:65] op_sel:[0,1]
	v_mov_b32_e32 v105, v63
	v_pk_fma_f32 v[106:107], v[0:1], v[64:65], v[2:3] op_sel:[0,0,1] op_sel_hi:[1,1,0] neg_lo:[0,0,1] neg_hi:[0,0,1]
	v_pk_fma_f32 v[64:65], v[0:1], v[64:65], v[2:3] op_sel:[0,0,1] op_sel_hi:[1,0,0]
	v_mov_b32_e32 v0, v67
	s_waitcnt lgkmcnt(0)
	v_pk_mul_f32 v[0:1], v[22:23], v[0:1] op_sel_hi:[1,0]
	ds_read2_b32 v[2:3], v36 offset1:1
	v_pk_fma_f32 v[108:109], v[22:23], v[66:67], v[0:1] op_sel:[0,0,1] op_sel_hi:[1,1,0] neg_lo:[0,0,1] neg_hi:[0,0,1]
	v_pk_fma_f32 v[22:23], v[22:23], v[66:67], v[0:1] op_sel:[0,0,1] op_sel_hi:[1,0,0]
	v_pk_mul_f32 v[0:1], v[68:69], v[24:25] op_sel:[0,1]
	v_mov_b32_e32 v99, v87
	v_pk_fma_f32 v[66:67], v[68:69], v[24:25], v[0:1] op_sel:[0,0,1] op_sel_hi:[1,1,0] neg_lo:[0,0,1] neg_hi:[0,0,1]
	v_pk_fma_f32 v[24:25], v[68:69], v[24:25], v[0:1] op_sel:[0,0,1] op_sel_hi:[1,0,0]
	ds_read_b64 v[68:69], v30 offset:17280
	s_waitcnt lgkmcnt(1)
	v_mov_b32_e32 v0, v3
	v_pk_mul_f32 v[0:1], v[0:1], v[70:71] op_sel_hi:[0,1]
	v_pk_fma_f32 v[110:111], v[70:71], v[2:3], v[0:1] op_sel:[0,0,1] op_sel_hi:[1,1,0] neg_lo:[0,0,1] neg_hi:[0,0,1]
	v_pk_fma_f32 v[70:71], v[70:71], v[2:3], v[0:1] op_sel:[0,0,1] op_sel_hi:[1,0,0]
	s_waitcnt lgkmcnt(0)
	v_pk_mul_f32 v[0:1], v[68:69], v[72:73] op_sel:[0,1]
	v_mov_b32_e32 v111, v71
	v_pk_fma_f32 v[116:117], v[68:69], v[72:73], v[0:1] op_sel:[0,0,1] op_sel_hi:[1,1,0] neg_lo:[0,0,1] neg_hi:[0,0,1]
	v_pk_fma_f32 v[68:69], v[68:69], v[72:73], v[0:1] op_sel:[0,0,1] op_sel_hi:[1,0,0]
	ds_read2_b64 v[0:3], v45 offset0:48 offset1:192
	v_mov_b32_e32 v67, v25
	v_pk_add_f32 v[62:63], v[102:103], v[66:67]
	v_pk_add_f32 v[24:25], v[112:113], v[104:105]
	v_mov_b32_e32 v91, v49
	s_waitcnt lgkmcnt(0)
	v_pk_mul_f32 v[44:45], v[0:1], v[6:7] op_sel_hi:[1,0]
	v_pk_add_f32 v[24:25], v[24:25], v[110:111]
	v_pk_fma_f32 v[72:73], v[0:1], v[74:75], v[44:45] op_sel:[0,0,1] op_sel_hi:[1,1,0] neg_lo:[0,0,1] neg_hi:[0,0,1]
	v_pk_fma_f32 v[0:1], v[0:1], v[74:75], v[44:45] op_sel:[0,0,1] op_sel_hi:[1,0,0]
	s_waitcnt vmcnt(1)
	v_pk_mul_f32 v[44:45], v[2:3], v[88:89] op_sel:[0,1]
	v_lshlrev_b32_sdwa v0, v46, v120 dst_sel:DWORD dst_unused:UNUSED_PAD src0_sel:DWORD src1_sel:BYTE_0
	v_pk_fma_f32 v[74:75], v[2:3], v[88:89], v[44:45] op_sel:[0,0,1] op_sel_hi:[1,1,0] neg_lo:[0,0,1] neg_hi:[0,0,1]
	v_pk_fma_f32 v[2:3], v[2:3], v[88:89], v[44:45] op_sel:[0,0,1] op_sel_hi:[1,0,0]
	v_pk_add_f32 v[44:45], v[104:105], v[110:111] neg_lo:[0,1] neg_hi:[0,1]
	v_mov_b32_e32 v75, v3
	v_pk_add_f32 v[2:3], v[104:105], v[110:111]
	v_pk_mul_f32 v[44:45], v[44:45], s[2:3] op_sel_hi:[1,0]
	v_pk_fma_f32 v[2:3], v[2:3], 0.5, v[112:113] op_sel_hi:[1,0,1] neg_lo:[1,0,0] neg_hi:[1,0,0]
	v_pk_add_f32 v[62:63], v[62:63], v[74:75]
	v_pk_add_f32 v[60:61], v[44:45], v[2:3] op_sel:[1,0] op_sel_hi:[0,1]
	v_pk_add_f32 v[2:3], v[2:3], v[44:45] op_sel:[0,1] op_sel_hi:[1,0] neg_lo:[0,1] neg_hi:[0,1]
	v_pk_add_f32 v[44:45], v[66:67], v[74:75]
	v_pk_add_f32 v[66:67], v[66:67], v[74:75] neg_lo:[0,1] neg_hi:[0,1]
	v_pk_fma_f32 v[44:45], v[44:45], 0.5, v[102:103] op_sel_hi:[1,0,1] neg_lo:[1,0,0] neg_hi:[1,0,0]
	v_add3_u32 v0, 0, v5, v0
	v_pk_fma_f32 v[70:71], v[66:67], s[2:3], v[44:45] op_sel:[0,0,1] op_sel_hi:[1,0,0]
	v_pk_fma_f32 v[44:45], v[66:67], s[2:3], v[44:45] op_sel:[0,0,1] op_sel_hi:[1,0,0] neg_lo:[1,0,0] neg_hi:[1,0,0]
	v_mul_f32_e32 v6, 0xbf5db3d7, v71
	ds_read_b64 v[46:47], v41
	ds_read_b64 v[66:67], v42
	ds_read_b64 v[74:75], v40
	v_mul_f32_e32 v5, 0x3f5db3d7, v44
	v_fmac_f32_e32 v6, 0.5, v44
	v_mov_b32_e32 v44, v70
	v_fmac_f32_e32 v5, 0.5, v71
	v_pk_mul_f32 v[70:71], v[44:45], 0.5 op_sel_hi:[1,0]
	v_pk_add_f32 v[102:103], v[24:25], v[62:63]
	v_pk_fma_f32 v[44:45], v[44:45], s[2:3], v[70:71] op_sel:[0,0,1] op_sel_hi:[1,1,0] neg_lo:[0,0,1] neg_hi:[0,0,1]
	v_pk_add_f32 v[24:25], v[24:25], v[62:63] neg_lo:[0,1] neg_hi:[0,1]
	v_mov_b32_e32 v62, v2
	v_mov_b32_e32 v63, v61
	v_pk_add_f32 v[70:71], v[62:63], v[44:45]
	s_waitcnt lgkmcnt(0)
	s_barrier
	v_add_f32_e32 v89, v3, v6
	ds_write2_b64 v0, v[70:71], v[24:25] offset0:72 offset1:108
	v_sub_f32_e32 v2, v60, v5
	v_sub_f32_e32 v3, v3, v6
	v_pk_add_f32 v[24:25], v[62:63], v[44:45] neg_lo:[0,1] neg_hi:[0,1]
	ds_write2_b64 v0, v[2:3], v[24:25] offset0:144 offset1:180
	v_pk_add_f32 v[24:25], v[74:75], v[76:77]
	v_pk_add_f32 v[2:3], v[76:77], v[28:29]
	;; [unrolled: 1-line block ×3, first 2 shown]
	v_pk_add_f32 v[28:29], v[76:77], v[28:29] neg_lo:[0,1] neg_hi:[0,1]
	v_add_f32_e32 v88, v60, v5
	v_pk_fma_f32 v[2:3], v[2:3], 0.5, v[74:75] op_sel_hi:[1,0,1] neg_lo:[1,0,0] neg_hi:[1,0,0]
	v_pk_mul_f32 v[28:29], v[28:29], s[2:3] op_sel_hi:[1,0]
	ds_write2_b64 v0, v[102:103], v[88:89] offset1:36
	v_pk_add_f32 v[44:45], v[28:29], v[2:3] op_sel:[1,0] op_sel_hi:[0,1]
	v_pk_add_f32 v[2:3], v[2:3], v[28:29] op_sel:[0,1] op_sel_hi:[1,0] neg_lo:[0,1] neg_hi:[0,1]
	v_pk_add_f32 v[28:29], v[94:95], v[98:99]
	v_perm_b32 v0, v119, v118, s6
	s_movk_i32 s6, 0x6c0
	v_pk_fma_f32 v[28:29], v[28:29], 0.5, v[90:91] op_sel_hi:[1,0,1] neg_lo:[1,0,0] neg_hi:[1,0,0]
	v_pk_add_f32 v[50:51], v[94:95], v[98:99] neg_lo:[0,1] neg_hi:[0,1]
	v_pk_mul_lo_u16 v0, v0, s6 op_sel_hi:[1,0]
	v_pk_fma_f32 v[56:57], v[50:51], s[2:3], v[28:29] op_sel:[0,0,1] op_sel_hi:[1,0,0]
	v_pk_fma_f32 v[28:29], v[50:51], s[2:3], v[28:29] op_sel:[0,0,1] op_sel_hi:[1,0,0] neg_lo:[1,0,0] neg_hi:[1,0,0]
	v_lshlrev_b32_e32 v5, 3, v17
	v_lshrrev_b32_e32 v6, 16, v0
	v_pk_add_f32 v[48:49], v[90:91], v[94:95]
	v_add3_u32 v5, 0, v6, v5
	v_mul_f32_e32 v6, 0x3f5db3d7, v28
	v_mul_f32_e32 v17, 0xbf5db3d7, v57
	v_pk_add_f32 v[48:49], v[48:49], v[98:99]
	v_fmac_f32_e32 v6, 0.5, v57
	v_fmac_f32_e32 v17, 0.5, v28
	v_add_f32_e32 v50, v44, v6
	v_add_f32_e32 v51, v3, v17
	v_pk_add_f32 v[58:59], v[24:25], v[48:49]
	v_mov_b32_e32 v28, v56
	ds_write2_b64 v5, v[58:59], v[50:51] offset1:36
	v_pk_mul_f32 v[50:51], v[28:29], 0.5 op_sel_hi:[1,0]
	v_pk_add_f32 v[24:25], v[24:25], v[48:49] neg_lo:[0,1] neg_hi:[0,1]
	v_pk_fma_f32 v[28:29], v[28:29], s[2:3], v[50:51] op_sel:[0,0,1] op_sel_hi:[1,1,0] neg_lo:[0,0,1] neg_hi:[0,0,1]
	v_mov_b32_e32 v48, v2
	v_mov_b32_e32 v49, v45
	v_pk_add_f32 v[50:51], v[48:49], v[28:29]
	ds_write2_b64 v5, v[50:51], v[24:25] offset0:72 offset1:108
	v_sub_f32_e32 v2, v44, v6
	v_sub_f32_e32 v3, v3, v17
	v_pk_add_f32 v[24:25], v[48:49], v[28:29] neg_lo:[0,1] neg_hi:[0,1]
	v_mov_b32_e32 v79, v83
	v_mov_b32_e32 v81, v55
	ds_write2_b64 v5, v[2:3], v[24:25] offset0:144 offset1:180
	v_mov_b32_e32 v5, v27
	v_pk_add_f32 v[26:27], v[78:79], v[80:81]
	v_pk_add_f32 v[44:45], v[78:79], v[80:81] neg_lo:[0,1] neg_hi:[0,1]
	v_mov_b32_e32 v93, v53
	v_mov_b32_e32 v97, v85
	v_pk_fma_f32 v[26:27], v[26:27], 0.5, v[66:67] op_sel_hi:[1,0,1] neg_lo:[1,0,0] neg_hi:[1,0,0]
	v_pk_mul_f32 v[44:45], v[44:45], s[2:3] op_sel_hi:[1,0]
	s_waitcnt vmcnt(0)
	v_pk_mul_f32 v[2:3], v[100:101], v[114:115] op_sel:[0,1]
	v_pk_add_f32 v[48:49], v[44:45], v[26:27] op_sel:[1,0] op_sel_hi:[0,1]
	v_pk_add_f32 v[26:27], v[26:27], v[44:45] op_sel:[0,1] op_sel_hi:[1,0] neg_lo:[0,1] neg_hi:[0,1]
	v_pk_add_f32 v[44:45], v[92:93], v[96:97]
	v_pk_fma_f32 v[24:25], v[100:101], v[114:115], v[2:3] op_sel:[0,0,1] op_sel_hi:[1,1,0] neg_lo:[0,0,1] neg_hi:[0,0,1]
	v_pk_fma_f32 v[2:3], v[100:101], v[114:115], v[2:3] op_sel:[0,0,1] op_sel_hi:[1,0,0]
	v_pk_fma_f32 v[44:45], v[44:45], 0.5, v[4:5] op_sel_hi:[1,0,1] neg_lo:[1,0,0] neg_hi:[1,0,0]
	v_pk_add_f32 v[50:51], v[92:93], v[96:97] neg_lo:[0,1] neg_hi:[0,1]
	v_and_b32_e32 v0, 0xffc0, v0
	v_pk_fma_f32 v[52:53], v[50:51], s[2:3], v[44:45] op_sel:[0,0,1] op_sel_hi:[1,0,0]
	v_lshlrev_b32_e32 v2, 3, v7
	v_pk_fma_f32 v[44:45], v[50:51], s[2:3], v[44:45] op_sel:[0,0,1] op_sel_hi:[1,0,0] neg_lo:[1,0,0] neg_hi:[1,0,0]
	v_add3_u32 v17, 0, v0, v2
	v_mul_f32_e32 v2, 0xbf5db3d7, v53
	v_pk_add_f32 v[28:29], v[66:67], v[78:79]
	v_pk_add_f32 v[4:5], v[4:5], v[92:93]
	v_mul_f32_e32 v0, 0x3f5db3d7, v44
	v_fmac_f32_e32 v2, 0.5, v44
	v_mov_b32_e32 v44, v52
	v_pk_add_f32 v[28:29], v[28:29], v[80:81]
	v_pk_add_f32 v[4:5], v[4:5], v[96:97]
	v_fmac_f32_e32 v0, 0.5, v53
	v_mov_b32_e32 v109, v23
	v_pk_mul_f32 v[22:23], v[44:45], 0.5 op_sel_hi:[1,0]
	v_add_f32_e32 v6, v48, v0
	v_add_f32_e32 v7, v27, v2
	v_pk_add_f32 v[50:51], v[28:29], v[4:5]
	v_sub_f32_e32 v0, v48, v0
	v_mov_b32_e32 v48, v26
	v_pk_fma_f32 v[22:23], v[44:45], s[2:3], v[22:23] op_sel:[0,0,1] op_sel_hi:[1,1,0] neg_lo:[0,0,1] neg_hi:[0,0,1]
	ds_write2_b64 v17, v[50:51], v[6:7] offset1:36
	v_mov_b32_e32 v107, v65
	v_mov_b32_e32 v117, v69
	;; [unrolled: 1-line block ×3, first 2 shown]
	v_mul_u32_u24_e32 v1, 0x6c0, v121
	v_lshlrev_b32_e32 v6, 3, v122
	v_mov_b32_e32 v25, v3
	v_pk_add_f32 v[4:5], v[28:29], v[4:5] neg_lo:[0,1] neg_hi:[0,1]
	v_pk_add_f32 v[28:29], v[48:49], v[22:23]
	v_add3_u32 v43, 0, v1, v6
	v_sub_f32_e32 v1, v27, v2
	v_pk_add_f32 v[6:7], v[106:107], v[116:117]
	ds_write2_b64 v17, v[28:29], v[4:5] offset0:72 offset1:108
	v_pk_add_f32 v[4:5], v[48:49], v[22:23] neg_lo:[0,1] neg_hi:[0,1]
	v_pk_add_f32 v[28:29], v[116:117], v[24:25]
	v_pk_add_f32 v[6:7], v[6:7], v[24:25]
	ds_write2_b64 v17, v[0:1], v[4:5] offset0:144 offset1:180
	v_pk_add_f32 v[0:1], v[108:109], v[72:73]
	v_pk_add_f32 v[4:5], v[108:109], v[72:73] neg_lo:[0,1] neg_hi:[0,1]
	v_pk_fma_f32 v[28:29], v[28:29], 0.5, v[106:107] op_sel_hi:[1,0,1] neg_lo:[1,0,0] neg_hi:[1,0,0]
	v_pk_add_f32 v[24:25], v[116:117], v[24:25] neg_lo:[0,1] neg_hi:[0,1]
	v_pk_fma_f32 v[0:1], v[0:1], 0.5, v[46:47] op_sel_hi:[1,0,1] neg_lo:[1,0,0] neg_hi:[1,0,0]
	v_pk_mul_f32 v[4:5], v[4:5], s[2:3] op_sel_hi:[1,0]
	v_pk_fma_f32 v[44:45], v[24:25], s[2:3], v[28:29] op_sel:[0,0,1] op_sel_hi:[1,0,0]
	v_pk_fma_f32 v[24:25], v[24:25], s[2:3], v[28:29] op_sel:[0,0,1] op_sel_hi:[1,0,0] neg_lo:[1,0,0] neg_hi:[1,0,0]
	v_pk_add_f32 v[22:23], v[4:5], v[0:1] op_sel:[1,0] op_sel_hi:[0,1]
	v_pk_add_f32 v[0:1], v[0:1], v[4:5] op_sel:[0,1] op_sel_hi:[1,0] neg_lo:[0,1] neg_hi:[0,1]
	v_mov_b32_e32 v28, v44
	v_mov_b32_e32 v29, v25
	v_mul_f32_e32 v17, 0xbf5db3d7, v45
	v_pk_add_f32 v[2:3], v[46:47], v[108:109]
	v_mov_b32_e32 v4, v0
	v_mul_f32_e32 v0, 0x3f5db3d7, v24
	v_fmac_f32_e32 v17, 0.5, v24
	v_pk_mul_f32 v[24:25], v[28:29], 0.5 op_sel_hi:[1,0]
	v_pk_add_f32 v[2:3], v[2:3], v[72:73]
	v_mov_b32_e32 v5, v23
	v_pk_fma_f32 v[24:25], v[28:29], s[2:3], v[24:25] op_sel:[0,0,1] op_sel_hi:[1,1,0] neg_lo:[0,0,1] neg_hi:[0,0,1]
	v_pk_add_f32 v[26:27], v[2:3], v[6:7]
	v_fmac_f32_e32 v0, 0.5, v45
	v_pk_add_f32 v[28:29], v[4:5], v[24:25]
	v_pk_add_f32 v[2:3], v[2:3], v[6:7] neg_lo:[0,1] neg_hi:[0,1]
	v_add_f32_e32 v44, v22, v0
	v_add_f32_e32 v45, v1, v17
	v_sub_f32_e32 v0, v22, v0
	v_sub_f32_e32 v1, v1, v17
	ds_write2_b64 v43, v[28:29], v[2:3] offset0:72 offset1:108
	v_pk_add_f32 v[2:3], v[4:5], v[24:25] neg_lo:[0,1] neg_hi:[0,1]
	ds_write2_b64 v43, v[0:1], v[2:3] offset0:144 offset1:180
	v_lshrrev_b16_e32 v1, 3, v14
	v_mul_u32_u24_e32 v1, 0x12f7, v1
	v_lshrrev_b32_e32 v1, 17, v1
	v_lshrrev_b16_e32 v0, 3, v18
	v_mul_lo_u16_e32 v1, 0xd8, v1
	v_sub_u16_e32 v17, v14, v1
	v_mul_u32_u24_e32 v0, 0x12f7, v0
	v_mul_u32_u24_e32 v1, 3, v17
	v_lshrrev_b32_e32 v108, 17, v0
	ds_write2_b64 v43, v[26:27], v[44:45] offset1:36
	v_lshlrev_b32_e32 v43, 3, v1
	v_mul_lo_u16_e32 v0, 0xd8, v108
	s_waitcnt lgkmcnt(0)
	s_barrier
	global_load_dwordx4 v[4:7], v43, s[4:5] offset:1680
	v_sub_u16_e32 v109, v18, v0
	v_mul_u32_u24_e32 v0, 3, v109
	v_lshlrev_b32_e32 v56, 3, v0
	global_load_dwordx4 v[0:3], v56, s[4:5] offset:1680
	v_lshrrev_b16_e32 v23, 3, v20
	v_mul_u32_u24_e32 v22, 3, v8
	v_mul_u32_u24_e32 v23, 0x12f7, v23
	v_lshlrev_b32_e32 v22, 3, v22
	global_load_dwordx4 v[24:27], v22, s[4:5] offset:3408
	v_lshrrev_b32_e32 v23, 17, v23
	v_mul_lo_u16_e32 v23, 0xd8, v23
	v_sub_u16_e32 v110, v20, v23
	v_mul_u32_u24_e32 v23, 3, v110
	v_lshlrev_b32_e32 v57, 3, v23
	global_load_dwordx4 v[44:47], v57, s[4:5] offset:1680
	global_load_dwordx4 v[48:51], v22, s[4:5] offset:1680
	s_movk_i32 s2, 0x48
	v_add_u32_e32 v28, 0xffffffb8, v8
	v_cmp_gt_u32_e32 vcc, s2, v8
	v_mov_b32_e32 v23, 0
	v_mov_b32_e32 v29, v23
	v_cndmask_b32_e32 v111, v28, v12, vcc
	v_lshl_add_u32 v28, v111, 1, v111
	v_lshl_add_u64 v[28:29], v[28:29], 3, s[4:5]
	global_load_dwordx4 v[52:55], v[28:29], off offset:1680
	global_load_dwordx2 v[64:65], v43, s[4:5] offset:1696
	global_load_dwordx2 v[66:67], v56, s[4:5] offset:1696
	;; [unrolled: 1-line block ×4, first 2 shown]
	global_load_dwordx2 v[72:73], v[28:29], off offset:1696
	global_load_dwordx2 v[74:75], v22, s[4:5] offset:1696
	ds_read2_b64 v[56:59], v34 offset0:32 offset1:176
	ds_read2_b64 v[60:63], v36 offset1:144
	v_lshl_add_u32 v43, v14, 3, 0
	s_movk_i32 s2, 0x47
	v_cmp_lt_u32_e32 vcc, s2, v8
	v_lshl_add_u32 v17, v17, 3, 0
	s_movk_i32 s2, 0x1000
	s_waitcnt vmcnt(11) lgkmcnt(1)
	v_pk_mul_f32 v[28:29], v[58:59], v[4:5] op_sel:[0,1]
	s_nop 0
	v_pk_fma_f32 v[76:77], v[58:59], v[4:5], v[28:29] op_sel:[0,0,1] op_sel_hi:[1,1,0] neg_lo:[0,0,1] neg_hi:[0,0,1]
	v_pk_fma_f32 v[28:29], v[58:59], v[4:5], v[28:29] op_sel:[0,0,1] op_sel_hi:[1,0,0]
	v_mov_b32_e32 v4, v7
	s_waitcnt lgkmcnt(0)
	v_pk_mul_f32 v[4:5], v[62:63], v[4:5] op_sel_hi:[1,0]
	v_mov_b32_e32 v77, v29
	v_pk_fma_f32 v[58:59], v[62:63], v[6:7], v[4:5] op_sel:[0,0,1] op_sel_hi:[1,1,0] neg_lo:[0,0,1] neg_hi:[0,0,1]
	v_pk_fma_f32 v[62:63], v[62:63], v[6:7], v[4:5] op_sel:[0,0,1] op_sel_hi:[1,0,0]
	s_waitcnt vmcnt(10)
	v_pk_mul_f32 v[4:5], v[56:57], v[0:1] op_sel:[0,1]
	v_mov_b32_e32 v59, v63
	v_pk_fma_f32 v[78:79], v[56:57], v[0:1], v[4:5] op_sel:[0,0,1] op_sel_hi:[1,1,0] neg_lo:[0,0,1] neg_hi:[0,0,1]
	v_pk_fma_f32 v[56:57], v[56:57], v[0:1], v[4:5] op_sel:[0,0,1] op_sel_hi:[1,0,0]
	v_mov_b32_e32 v0, v3
	ds_read2_b64 v[4:7], v35 offset1:144
	v_pk_mul_f32 v[0:1], v[60:61], v[0:1] op_sel_hi:[1,0]
	v_mov_b32_e32 v79, v57
	v_pk_fma_f32 v[80:81], v[60:61], v[2:3], v[0:1] op_sel:[0,0,1] op_sel_hi:[1,1,0] neg_lo:[0,0,1] neg_hi:[0,0,1]
	v_pk_fma_f32 v[60:61], v[60:61], v[2:3], v[0:1] op_sel:[0,0,1] op_sel_hi:[1,0,0]
	ds_read2_b64 v[0:3], v32 offset0:96 offset1:240
	s_waitcnt vmcnt(9) lgkmcnt(1)
	v_pk_mul_f32 v[82:83], v[4:5], v[24:25] op_sel:[0,1]
	v_mov_b32_e32 v81, v61
	v_pk_fma_f32 v[84:85], v[4:5], v[24:25], v[82:83] op_sel:[0,0,1] op_sel_hi:[1,1,0] neg_lo:[0,0,1] neg_hi:[0,0,1]
	v_pk_fma_f32 v[82:83], v[4:5], v[24:25], v[82:83] op_sel:[0,0,1] op_sel_hi:[1,0,0]
	v_mov_b32_e32 v4, v27
	s_waitcnt lgkmcnt(0)
	v_pk_mul_f32 v[4:5], v[0:1], v[4:5] op_sel_hi:[1,0]
	v_mov_b32_e32 v85, v83
	v_pk_fma_f32 v[86:87], v[0:1], v[26:27], v[4:5] op_sel:[0,0,1] op_sel_hi:[1,1,0] neg_lo:[0,0,1] neg_hi:[0,0,1]
	v_pk_fma_f32 v[88:89], v[0:1], v[26:27], v[4:5] op_sel:[0,0,1] op_sel_hi:[1,0,0]
	s_waitcnt vmcnt(8)
	v_pk_mul_f32 v[0:1], v[6:7], v[44:45] op_sel:[0,1]
	v_mov_b32_e32 v87, v89
	v_pk_fma_f32 v[90:91], v[6:7], v[44:45], v[0:1] op_sel:[0,0,1] op_sel_hi:[1,1,0] neg_lo:[0,0,1] neg_hi:[0,0,1]
	v_pk_fma_f32 v[44:45], v[6:7], v[44:45], v[0:1] op_sel:[0,0,1] op_sel_hi:[1,0,0]
	ds_read2_b64 v[4:7], v33 offset0:64 offset1:208
	v_mov_b32_e32 v0, v47
	v_pk_mul_f32 v[0:1], v[2:3], v[0:1] op_sel_hi:[1,0]
	v_mov_b32_e32 v91, v45
	v_pk_fma_f32 v[92:93], v[2:3], v[46:47], v[0:1] op_sel:[0,0,1] op_sel_hi:[1,1,0] neg_lo:[0,0,1] neg_hi:[0,0,1]
	v_pk_fma_f32 v[46:47], v[2:3], v[46:47], v[0:1] op_sel:[0,0,1] op_sel_hi:[1,0,0]
	s_waitcnt vmcnt(7) lgkmcnt(0)
	v_pk_mul_f32 v[0:1], v[50:51], v[4:5] op_sel:[0,1]
	v_mov_b32_e32 v93, v47
	v_pk_fma_f32 v[94:95], v[50:51], v[4:5], v[0:1] op_sel:[0,0,1] op_sel_hi:[1,1,0] neg_lo:[0,0,1] neg_hi:[0,0,1]
	v_pk_fma_f32 v[50:51], v[50:51], v[4:5], v[0:1] op_sel:[0,0,1] op_sel_hi:[1,0,0]
	ds_read2_b64 v[0:3], v13 offset0:96 offset1:240
	s_waitcnt vmcnt(6)
	v_mov_b32_e32 v4, v55
	v_pk_mul_f32 v[4:5], v[6:7], v[4:5] op_sel_hi:[1,0]
	v_mov_b32_e32 v95, v51
	v_pk_fma_f32 v[96:97], v[6:7], v[54:55], v[4:5] op_sel:[0,0,1] op_sel_hi:[1,1,0] neg_lo:[0,0,1] neg_hi:[0,0,1]
	v_pk_fma_f32 v[6:7], v[6:7], v[54:55], v[4:5] op_sel:[0,0,1] op_sel_hi:[1,0,0]
	s_waitcnt lgkmcnt(0)
	v_pk_mul_f32 v[4:5], v[2:3], v[52:53] op_sel:[0,1]
	v_mov_b32_e32 v6, v1
	v_pk_fma_f32 v[54:55], v[2:3], v[52:53], v[4:5] op_sel:[0,0,1] op_sel_hi:[1,1,0] neg_lo:[0,0,1] neg_hi:[0,0,1]
	v_pk_fma_f32 v[52:53], v[2:3], v[52:53], v[4:5] op_sel:[0,0,1] op_sel_hi:[1,0,0]
	ds_read2_b64 v[2:5], v38 offset0:96 offset1:240
	v_pk_mul_f32 v[24:25], v[48:49], v[0:1] op_sel_hi:[1,0]
	v_mov_b32_e32 v55, v53
	v_pk_fma_f32 v[98:99], v[48:49], v[0:1], v[24:25] op_sel:[0,1,1] op_sel_hi:[1,1,0] neg_lo:[1,0,0] neg_hi:[1,0,0]
	v_pk_fma_f32 v[48:49], v[48:49], v[6:7], v[24:25] op_sel:[0,0,1] op_sel_hi:[1,1,0]
	s_waitcnt vmcnt(5) lgkmcnt(0)
	v_pk_mul_f32 v[0:1], v[4:5], v[64:65] op_sel:[0,1]
	ds_read2_b64 v[24:27], v21 offset0:64 offset1:208
	v_pk_fma_f32 v[100:101], v[4:5], v[64:65], v[0:1] op_sel:[0,0,1] op_sel_hi:[1,1,0] neg_lo:[0,0,1] neg_hi:[0,0,1]
	v_pk_fma_f32 v[4:5], v[4:5], v[64:65], v[0:1] op_sel:[0,0,1] op_sel_hi:[1,0,0]
	s_waitcnt vmcnt(4)
	v_pk_mul_f32 v[0:1], v[2:3], v[66:67] op_sel:[0,1]
	v_mov_b32_e32 v49, v99
	v_pk_fma_f32 v[64:65], v[2:3], v[66:67], v[0:1] op_sel:[0,0,1] op_sel_hi:[1,1,0] neg_lo:[0,0,1] neg_hi:[0,0,1]
	v_pk_fma_f32 v[66:67], v[2:3], v[66:67], v[0:1] op_sel:[0,0,1] op_sel_hi:[1,0,0]
	ds_read2_b64 v[0:3], v37 offset0:32 offset1:176
	s_waitcnt vmcnt(3) lgkmcnt(1)
	v_pk_mul_f32 v[102:103], v[24:25], v[68:69] op_sel:[0,1]
	v_mov_b32_e32 v97, v7
	v_pk_fma_f32 v[104:105], v[24:25], v[68:69], v[102:103] op_sel:[0,0,1] op_sel_hi:[1,1,0] neg_lo:[0,0,1] neg_hi:[0,0,1]
	v_pk_fma_f32 v[24:25], v[24:25], v[68:69], v[102:103] op_sel:[0,0,1] op_sel_hi:[1,0,0]
	s_waitcnt vmcnt(2)
	v_pk_mul_f32 v[68:69], v[26:27], v[70:71] op_sel:[0,1]
	v_mov_b32_e32 v105, v25
	v_pk_fma_f32 v[102:103], v[26:27], v[70:71], v[68:69] op_sel:[0,0,1] op_sel_hi:[1,1,0] neg_lo:[0,0,1] neg_hi:[0,0,1]
	v_pk_fma_f32 v[26:27], v[26:27], v[70:71], v[68:69] op_sel:[0,0,1] op_sel_hi:[1,0,0]
	s_waitcnt vmcnt(1) lgkmcnt(0)
	v_pk_mul_f32 v[68:69], v[2:3], v[72:73] op_sel:[0,1]
	v_mov_b32_e32 v103, v27
	v_pk_fma_f32 v[70:71], v[2:3], v[72:73], v[68:69] op_sel:[0,0,1] op_sel_hi:[1,1,0] neg_lo:[0,0,1] neg_hi:[0,0,1]
	v_pk_fma_f32 v[2:3], v[2:3], v[72:73], v[68:69] op_sel:[0,0,1] op_sel_hi:[1,0,0]
	s_waitcnt vmcnt(0)
	v_pk_mul_f32 v[68:69], v[74:75], v[0:1] op_sel_hi:[1,0]
	v_mov_b32_e32 v2, v1
	v_pk_fma_f32 v[0:1], v[74:75], v[0:1], v[68:69] op_sel:[0,1,1] op_sel_hi:[1,1,0] neg_lo:[1,0,0] neg_hi:[1,0,0]
	v_pk_fma_f32 v[68:69], v[74:75], v[2:3], v[68:69] op_sel:[0,0,1] op_sel_hi:[1,1,0]
	v_add_u32_e32 v2, 0xd00, v30
	v_mov_b32_e32 v69, v1
	ds_read_b64 v[0:1], v30
	ds_read_b64 v[50:51], v39
	;; [unrolled: 1-line block ×4, first 2 shown]
	v_pk_add_f32 v[68:69], v[48:49], v[68:69] neg_lo:[0,1] neg_hi:[0,1]
	v_mov_b32_e32 v71, v3
	v_pk_fma_f32 v[48:49], v[48:49], 2.0, v[68:69] op_sel_hi:[1,0,1] neg_lo:[0,0,1] neg_hi:[0,0,1]
	s_waitcnt lgkmcnt(3)
	v_pk_add_f32 v[94:95], v[0:1], v[94:95] neg_lo:[0,1] neg_hi:[0,1]
	v_lshl_add_u32 v52, v110, 3, 0
	v_pk_add_f32 v[98:99], v[94:95], v[68:69] neg_lo:[0,1] neg_hi:[0,1]
	v_pk_add_f32 v[106:107], v[94:95], v[68:69]
	v_pk_fma_f32 v[0:1], v[0:1], 2.0, v[94:95] op_sel_hi:[1,0,1] neg_lo:[0,0,1] neg_hi:[0,0,1]
	v_mov_b32_e32 v99, v107
	v_pk_add_f32 v[48:49], v[0:1], v[48:49] op_sel:[0,1] op_sel_hi:[1,0] neg_lo:[0,1] neg_hi:[0,1]
	v_pk_fma_f32 v[94:95], v[94:95], 2.0, v[98:99] op_sel_hi:[1,0,1] neg_lo:[0,0,1] neg_hi:[0,0,1]
	v_pk_fma_f32 v[0:1], v[0:1], 2.0, v[48:49] op_sel_hi:[1,0,1] neg_lo:[0,0,1] neg_hi:[0,0,1]
	ds_read_b64 v[68:69], v42
	ds_read_b64 v[106:107], v41
	s_waitcnt lgkmcnt(0)
	s_barrier
	ds_write2_b64 v2, v[48:49], v[98:99] offset0:16 offset1:232
	ds_write2_b64 v30, v[0:1], v[94:95] offset1:216
	v_pk_add_f32 v[0:1], v[72:73], v[96:97] neg_lo:[0,1] neg_hi:[0,1]
	v_pk_add_f32 v[2:3], v[54:55], v[70:71] neg_lo:[0,1] neg_hi:[0,1]
	v_mov_b32_e32 v65, v67
	v_pk_fma_f32 v[6:7], v[54:55], 2.0, v[2:3] op_sel_hi:[1,0,1] neg_lo:[0,0,1] neg_hi:[0,0,1]
	v_pk_add_f32 v[48:49], v[0:1], v[2:3] op_sel:[0,1] op_sel_hi:[1,0] neg_lo:[0,1] neg_hi:[0,1]
	v_pk_add_f32 v[2:3], v[0:1], v[2:3] op_sel:[0,1] op_sel_hi:[1,0]
	v_mov_b32_e32 v101, v5
	v_mov_b32_e32 v2, 0x1b00
	;; [unrolled: 1-line block ×3, first 2 shown]
	v_cndmask_b32_e32 v2, 0, v2, vcc
	v_lshlrev_b32_e32 v3, 3, v111
	v_add3_u32 v4, 0, v2, v3
	v_pk_fma_f32 v[2:3], v[72:73], 2.0, v[0:1] op_sel_hi:[1,0,1] neg_lo:[0,0,1] neg_hi:[0,0,1]
	v_pk_fma_f32 v[0:1], v[0:1], 2.0, v[48:49] op_sel_hi:[1,0,1] neg_lo:[0,0,1] neg_hi:[0,0,1]
	v_pk_add_f32 v[6:7], v[2:3], v[6:7] neg_lo:[0,1] neg_hi:[0,1]
	v_pk_add_f32 v[44:45], v[50:51], v[80:81] neg_lo:[0,1] neg_hi:[0,1]
	v_pk_fma_f32 v[2:3], v[2:3], 2.0, v[6:7] op_sel_hi:[1,0,1] neg_lo:[0,0,1] neg_hi:[0,0,1]
	ds_write2_b64 v4, v[2:3], v[0:1] offset1:216
	v_add_u32_e32 v0, 0xd00, v4
	ds_write2_b64 v0, v[6:7], v[48:49] offset0:16 offset1:232
	v_pk_add_f32 v[0:1], v[68:69], v[86:87] neg_lo:[0,1] neg_hi:[0,1]
	v_pk_add_f32 v[2:3], v[84:85], v[104:105] neg_lo:[0,1] neg_hi:[0,1]
	v_add_u32_e32 v4, 0x1d00, v30
	v_pk_fma_f32 v[6:7], v[84:85], 2.0, v[2:3] op_sel_hi:[1,0,1] neg_lo:[0,0,1] neg_hi:[0,0,1]
	v_pk_add_f32 v[24:25], v[0:1], v[2:3] op_sel:[0,1] op_sel_hi:[1,0] neg_lo:[0,1] neg_hi:[0,1]
	v_pk_add_f32 v[2:3], v[0:1], v[2:3] op_sel:[0,1] op_sel_hi:[1,0]
	v_pk_add_f32 v[48:49], v[78:79], v[64:65] neg_lo:[0,1] neg_hi:[0,1]
	v_mov_b32_e32 v25, v3
	v_pk_fma_f32 v[2:3], v[68:69], 2.0, v[0:1] op_sel_hi:[1,0,1] neg_lo:[0,0,1] neg_hi:[0,0,1]
	v_pk_fma_f32 v[0:1], v[0:1], 2.0, v[24:25] op_sel_hi:[1,0,1] neg_lo:[0,0,1] neg_hi:[0,0,1]
	v_pk_add_f32 v[6:7], v[2:3], v[6:7] neg_lo:[0,1] neg_hi:[0,1]
	v_pk_fma_f32 v[46:47], v[50:51], 2.0, v[44:45] op_sel_hi:[1,0,1] neg_lo:[0,0,1] neg_hi:[0,0,1]
	v_pk_fma_f32 v[2:3], v[2:3], 2.0, v[6:7] op_sel_hi:[1,0,1] neg_lo:[0,0,1] neg_hi:[0,0,1]
	ds_write2_b64 v4, v[2:3], v[0:1] offset0:8 offset1:224
	v_add_u32_e32 v0, 0x2a00, v30
	ds_write2_b64 v0, v[6:7], v[24:25] offset0:24 offset1:240
	v_pk_add_f32 v[0:1], v[106:107], v[92:93] neg_lo:[0,1] neg_hi:[0,1]
	v_pk_add_f32 v[2:3], v[90:91], v[102:103] neg_lo:[0,1] neg_hi:[0,1]
	v_add_u32_e32 v4, 0x3600, v52
	v_pk_fma_f32 v[6:7], v[90:91], 2.0, v[2:3] op_sel_hi:[1,0,1] neg_lo:[0,0,1] neg_hi:[0,0,1]
	v_pk_add_f32 v[24:25], v[0:1], v[2:3] op_sel:[0,1] op_sel_hi:[1,0] neg_lo:[0,1] neg_hi:[0,1]
	v_pk_add_f32 v[2:3], v[0:1], v[2:3] op_sel:[0,1] op_sel_hi:[1,0]
	v_pk_fma_f32 v[50:51], v[78:79], 2.0, v[48:49] op_sel_hi:[1,0,1] neg_lo:[0,0,1] neg_hi:[0,0,1]
	v_mov_b32_e32 v25, v3
	v_pk_fma_f32 v[2:3], v[106:107], 2.0, v[0:1] op_sel_hi:[1,0,1] neg_lo:[0,0,1] neg_hi:[0,0,1]
	v_pk_fma_f32 v[0:1], v[0:1], 2.0, v[24:25] op_sel_hi:[1,0,1] neg_lo:[0,0,1] neg_hi:[0,0,1]
	v_pk_add_f32 v[6:7], v[2:3], v[6:7] neg_lo:[0,1] neg_hi:[0,1]
	v_pk_add_f32 v[50:51], v[46:47], v[50:51] neg_lo:[0,1] neg_hi:[0,1]
	v_pk_fma_f32 v[2:3], v[2:3], 2.0, v[6:7] op_sel_hi:[1,0,1] neg_lo:[0,0,1] neg_hi:[0,0,1]
	ds_write2_b64 v4, v[2:3], v[0:1] offset1:216
	v_lshl_add_u64 v[4:5], s[4:5], 0, v[22:23]
	v_add_u32_e32 v22, 0x4300, v52
	v_mul_u32_u24_e32 v0, 0x1b00, v108
	v_lshlrev_b32_e32 v1, 3, v109
	ds_write2_b64 v22, v[6:7], v[24:25] offset0:16 offset1:232
	v_pk_add_f32 v[6:7], v[44:45], v[48:49] op_sel:[0,1] op_sel_hi:[1,0] neg_lo:[0,1] neg_hi:[0,1]
	v_pk_add_f32 v[24:25], v[44:45], v[48:49] op_sel:[0,1] op_sel_hi:[1,0]
	v_add3_u32 v53, 0, v0, v1
	v_mov_b32_e32 v7, v25
	v_pk_add_f32 v[0:1], v[74:75], v[58:59] neg_lo:[0,1] neg_hi:[0,1]
	v_pk_add_f32 v[26:27], v[76:77], v[100:101] neg_lo:[0,1] neg_hi:[0,1]
	v_pk_fma_f32 v[46:47], v[46:47], 2.0, v[50:51] op_sel_hi:[1,0,1] neg_lo:[0,0,1] neg_hi:[0,0,1]
	v_pk_fma_f32 v[24:25], v[44:45], 2.0, v[6:7] op_sel_hi:[1,0,1] neg_lo:[0,0,1] neg_hi:[0,0,1]
	v_add_u32_e32 v22, 0xd00, v53
	v_pk_fma_f32 v[2:3], v[74:75], 2.0, v[0:1] op_sel_hi:[1,0,1] neg_lo:[0,0,1] neg_hi:[0,0,1]
	v_pk_fma_f32 v[28:29], v[76:77], 2.0, v[26:27] op_sel_hi:[1,0,1] neg_lo:[0,0,1] neg_hi:[0,0,1]
	ds_write2_b64 v53, v[46:47], v[24:25] offset1:216
	ds_write2_b64 v22, v[50:51], v[6:7] offset0:16 offset1:232
	v_pk_add_f32 v[6:7], v[0:1], v[26:27] op_sel:[0,1] op_sel_hi:[1,0] neg_lo:[0,1] neg_hi:[0,1]
	v_pk_add_f32 v[24:25], v[0:1], v[26:27] op_sel:[0,1] op_sel_hi:[1,0]
	v_pk_add_f32 v[28:29], v[2:3], v[28:29] neg_lo:[0,1] neg_hi:[0,1]
	v_mov_b32_e32 v7, v25
	v_pk_fma_f32 v[2:3], v[2:3], 2.0, v[28:29] op_sel_hi:[1,0,1] neg_lo:[0,0,1] neg_hi:[0,0,1]
	v_pk_fma_f32 v[0:1], v[0:1], 2.0, v[6:7] op_sel_hi:[1,0,1] neg_lo:[0,0,1] neg_hi:[0,0,1]
	v_add_u32_e32 v22, 0x5000, v17
	ds_write2_b64 v22, v[2:3], v[0:1] offset0:32 offset1:248
	v_add_u32_e32 v0, 0x5e00, v17
	v_mul_i32_i24_e32 v22, 3, v12
	ds_write2_b64 v0, v[28:29], v[6:7] offset0:16 offset1:232
	v_lshl_add_u64 v[6:7], v[22:23], 3, s[4:5]
	v_mul_i32_i24_e32 v22, 3, v16
	v_lshl_add_u64 v[24:25], v[22:23], 3, s[4:5]
	v_mul_i32_i24_e32 v22, 3, v20
	;; [unrolled: 2-line block ×4, first 2 shown]
	v_lshl_add_u64 v[64:65], v[22:23], 3, s[4:5]
	v_add_co_u32_e32 v0, vcc, s2, v64
	s_waitcnt lgkmcnt(0)
	s_nop 0
	v_addc_co_u32_e32 v1, vcc, 0, v65, vcc
	s_barrier
	global_load_dwordx4 v[0:3], v[0:1], off offset:2768
	v_add_co_u32_e32 v44, vcc, s2, v28
	s_nop 1
	v_addc_co_u32_e32 v45, vcc, 0, v29, vcc
	global_load_dwordx4 v[44:47], v[44:45], off offset:2768
	v_add_co_u32_e32 v48, vcc, s2, v26
	s_nop 1
	v_addc_co_u32_e32 v49, vcc, 0, v27, vcc
	global_load_dwordx4 v[48:51], v[48:49], off offset:2768
	v_add_co_u32_e32 v52, vcc, s2, v24
	s_nop 1
	v_addc_co_u32_e32 v53, vcc, 0, v25, vcc
	global_load_dwordx4 v[52:55], v[52:53], off offset:2768
	v_add_co_u32_e32 v56, vcc, s2, v4
	s_nop 1
	v_addc_co_u32_e32 v57, vcc, 0, v5, vcc
	global_load_dwordx4 v[56:59], v[56:57], off offset:2768
	v_add_co_u32_e32 v60, vcc, s2, v6
	s_mov_b64 s[2:3], 0x1ad0
	s_nop 0
	v_addc_co_u32_e32 v61, vcc, 0, v7, vcc
	global_load_dwordx4 v[60:63], v[60:61], off offset:2768
	v_lshl_add_u64 v[64:65], v[64:65], 0, s[2:3]
	global_load_dwordx2 v[64:65], v[64:65], off offset:16
	v_lshl_add_u64 v[28:29], v[28:29], 0, s[2:3]
	global_load_dwordx2 v[28:29], v[28:29], off offset:16
	;; [unrolled: 2-line block ×6, first 2 shown]
	ds_read2_b64 v[4:7], v34 offset0:32 offset1:176
	ds_read2_b64 v[24:27], v36 offset1:144
	s_add_u32 s2, s4, 0x6bd0
	s_addc_u32 s3, s5, 0
	v_cmp_ne_u32_e32 vcc, 0, v8
	s_waitcnt vmcnt(11) lgkmcnt(1)
	v_pk_mul_f32 v[74:75], v[6:7], v[0:1] op_sel:[0,1]
	s_nop 0
	v_pk_fma_f32 v[76:77], v[6:7], v[0:1], v[74:75] op_sel:[0,0,1] op_sel_hi:[1,1,0] neg_lo:[0,0,1] neg_hi:[0,0,1]
	v_pk_fma_f32 v[74:75], v[6:7], v[0:1], v[74:75] op_sel:[0,0,1] op_sel_hi:[1,0,0]
	v_mov_b32_e32 v0, v3
	s_waitcnt lgkmcnt(0)
	v_pk_mul_f32 v[0:1], v[26:27], v[0:1] op_sel_hi:[1,0]
	v_mov_b32_e32 v77, v75
	v_pk_fma_f32 v[78:79], v[26:27], v[2:3], v[0:1] op_sel:[0,0,1] op_sel_hi:[1,1,0] neg_lo:[0,0,1] neg_hi:[0,0,1]
	v_pk_fma_f32 v[80:81], v[26:27], v[2:3], v[0:1] op_sel:[0,0,1] op_sel_hi:[1,0,0]
	s_waitcnt vmcnt(10)
	v_pk_mul_f32 v[0:1], v[4:5], v[44:45] op_sel:[0,1]
	v_mov_b32_e32 v79, v81
	v_pk_fma_f32 v[82:83], v[4:5], v[44:45], v[0:1] op_sel:[0,0,1] op_sel_hi:[1,1,0] neg_lo:[0,0,1] neg_hi:[0,0,1]
	v_pk_fma_f32 v[44:45], v[4:5], v[44:45], v[0:1] op_sel:[0,0,1] op_sel_hi:[1,0,0]
	v_mov_b32_e32 v4, v47
	ds_read2_b64 v[0:3], v35 offset1:144
	v_pk_mul_f32 v[4:5], v[24:25], v[4:5] op_sel_hi:[1,0]
	v_mov_b32_e32 v83, v45
	v_pk_fma_f32 v[34:35], v[24:25], v[46:47], v[4:5] op_sel:[0,0,1] op_sel_hi:[1,1,0] neg_lo:[0,0,1] neg_hi:[0,0,1]
	v_pk_fma_f32 v[46:47], v[24:25], v[46:47], v[4:5] op_sel:[0,0,1] op_sel_hi:[1,0,0]
	ds_read2_b64 v[4:7], v32 offset0:96 offset1:240
	s_waitcnt vmcnt(9) lgkmcnt(1)
	v_pk_mul_f32 v[24:25], v[2:3], v[48:49] op_sel:[0,1]
	v_mov_b32_e32 v35, v47
	v_pk_fma_f32 v[84:85], v[2:3], v[48:49], v[24:25] op_sel:[0,0,1] op_sel_hi:[1,1,0] neg_lo:[0,0,1] neg_hi:[0,0,1]
	v_pk_fma_f32 v[48:49], v[2:3], v[48:49], v[24:25] op_sel:[0,0,1] op_sel_hi:[1,0,0]
	v_mov_b32_e32 v2, v51
	s_waitcnt lgkmcnt(0)
	v_pk_mul_f32 v[2:3], v[6:7], v[2:3] op_sel_hi:[1,0]
	ds_read2_b64 v[24:27], v33 offset0:64 offset1:208
	v_pk_fma_f32 v[86:87], v[6:7], v[50:51], v[2:3] op_sel:[0,0,1] op_sel_hi:[1,1,0] neg_lo:[0,0,1] neg_hi:[0,0,1]
	v_pk_fma_f32 v[50:51], v[6:7], v[50:51], v[2:3] op_sel:[0,0,1] op_sel_hi:[1,0,0]
	s_waitcnt vmcnt(8)
	v_pk_mul_f32 v[2:3], v[0:1], v[52:53] op_sel:[0,1]
	v_mov_b32_e32 v6, v55
	v_pk_fma_f32 v[88:89], v[0:1], v[52:53], v[2:3] op_sel:[0,0,1] op_sel_hi:[1,1,0] neg_lo:[0,0,1] neg_hi:[0,0,1]
	v_pk_fma_f32 v[52:53], v[0:1], v[52:53], v[2:3] op_sel:[0,0,1] op_sel_hi:[1,0,0]
	ds_read2_b64 v[0:3], v13 offset0:96 offset1:240
	v_pk_mul_f32 v[6:7], v[4:5], v[6:7] op_sel_hi:[1,0]
	v_mov_b32_e32 v89, v53
	v_pk_fma_f32 v[90:91], v[4:5], v[54:55], v[6:7] op_sel:[0,0,1] op_sel_hi:[1,1,0] neg_lo:[0,0,1] neg_hi:[0,0,1]
	v_pk_fma_f32 v[32:33], v[4:5], v[54:55], v[6:7] op_sel:[0,0,1] op_sel_hi:[1,0,0]
	s_waitcnt vmcnt(7) lgkmcnt(0)
	v_pk_mul_f32 v[4:5], v[56:57], v[0:1] op_sel:[0,1]
	v_mov_b32_e32 v91, v33
	v_pk_fma_f32 v[54:55], v[56:57], v[0:1], v[4:5] op_sel:[0,0,1] op_sel_hi:[1,1,0] neg_lo:[0,0,1] neg_hi:[0,0,1]
	v_pk_fma_f32 v[56:57], v[56:57], v[0:1], v[4:5] op_sel:[0,0,1] op_sel_hi:[1,0,0]
	v_pk_mul_f32 v[0:1], v[58:59], v[24:25] op_sel:[0,1]
	s_waitcnt vmcnt(6)
	v_mov_b32_e32 v4, v63
	v_pk_fma_f32 v[92:93], v[58:59], v[24:25], v[0:1] op_sel:[0,0,1] op_sel_hi:[1,1,0] neg_lo:[0,0,1] neg_hi:[0,0,1]
	v_pk_fma_f32 v[24:25], v[58:59], v[24:25], v[0:1] op_sel:[0,0,1] op_sel_hi:[1,0,0]
	v_pk_mul_f32 v[0:1], v[2:3], v[60:61] op_sel:[0,1]
	v_pk_mul_f32 v[4:5], v[26:27], v[4:5] op_sel_hi:[1,0]
	v_pk_fma_f32 v[58:59], v[2:3], v[60:61], v[0:1] op_sel:[0,0,1] op_sel_hi:[1,1,0] neg_lo:[0,0,1] neg_hi:[0,0,1]
	v_pk_fma_f32 v[60:61], v[2:3], v[60:61], v[0:1] op_sel:[0,0,1] op_sel_hi:[1,0,0]
	ds_read2_b64 v[0:3], v38 offset0:96 offset1:240
	v_pk_fma_f32 v[94:95], v[26:27], v[62:63], v[4:5] op_sel:[0,0,1] op_sel_hi:[1,1,0] neg_lo:[0,0,1] neg_hi:[0,0,1]
	v_pk_fma_f32 v[26:27], v[26:27], v[62:63], v[4:5] op_sel:[0,0,1] op_sel_hi:[1,0,0]
	ds_read2_b64 v[4:7], v21 offset0:64 offset1:208
	v_mov_b32_e32 v93, v25
	s_waitcnt vmcnt(5) lgkmcnt(1)
	v_pk_mul_f32 v[62:63], v[2:3], v[64:65] op_sel:[0,1]
	ds_read_b64 v[24:25], v30
	v_pk_fma_f32 v[96:97], v[2:3], v[64:65], v[62:63] op_sel:[0,0,1] op_sel_hi:[1,1,0] neg_lo:[0,0,1] neg_hi:[0,0,1]
	v_pk_fma_f32 v[62:63], v[2:3], v[64:65], v[62:63] op_sel:[0,0,1] op_sel_hi:[1,0,0]
	s_waitcnt vmcnt(4)
	v_pk_mul_f32 v[2:3], v[0:1], v[28:29] op_sel:[0,1]
	s_waitcnt vmcnt(3) lgkmcnt(1)
	v_pk_mul_f32 v[98:99], v[6:7], v[66:67] op_sel:[0,1]
	v_pk_fma_f32 v[64:65], v[0:1], v[28:29], v[2:3] op_sel:[0,0,1] op_sel_hi:[1,1,0] neg_lo:[0,0,1] neg_hi:[0,0,1]
	v_pk_fma_f32 v[28:29], v[0:1], v[28:29], v[2:3] op_sel:[0,0,1] op_sel_hi:[1,0,0]
	ds_read2_b64 v[0:3], v37 offset0:32 offset1:176
	s_waitcnt vmcnt(2)
	v_pk_mul_f32 v[36:37], v[4:5], v[68:69] op_sel:[0,1]
	v_pk_fma_f32 v[100:101], v[6:7], v[66:67], v[98:99] op_sel:[0,0,1] op_sel_hi:[1,1,0] neg_lo:[0,0,1] neg_hi:[0,0,1]
	v_pk_fma_f32 v[6:7], v[6:7], v[66:67], v[98:99] op_sel:[0,0,1] op_sel_hi:[1,0,0]
	v_pk_fma_f32 v[66:67], v[4:5], v[68:69], v[36:37] op_sel:[0,0,1] op_sel_hi:[1,1,0] neg_lo:[0,0,1] neg_hi:[0,0,1]
	v_pk_fma_f32 v[4:5], v[4:5], v[68:69], v[36:37] op_sel:[0,0,1] op_sel_hi:[1,0,0]
	s_waitcnt vmcnt(1) lgkmcnt(0)
	v_pk_mul_f32 v[36:37], v[70:71], v[0:1] op_sel:[0,1]
	v_mov_b32_e32 v55, v57
	v_pk_fma_f32 v[68:69], v[70:71], v[0:1], v[36:37] op_sel:[0,0,1] op_sel_hi:[1,1,0] neg_lo:[0,0,1] neg_hi:[0,0,1]
	v_pk_fma_f32 v[0:1], v[70:71], v[0:1], v[36:37] op_sel:[0,0,1] op_sel_hi:[1,0,0]
	s_waitcnt vmcnt(0)
	v_pk_mul_f32 v[36:37], v[2:3], v[72:73] op_sel:[0,1]
	v_mov_b32_e32 v69, v1
	v_pk_fma_f32 v[70:71], v[2:3], v[72:73], v[36:37] op_sel:[0,0,1] op_sel_hi:[1,1,0] neg_lo:[0,0,1] neg_hi:[0,0,1]
	v_pk_fma_f32 v[2:3], v[2:3], v[72:73], v[36:37] op_sel:[0,0,1] op_sel_hi:[1,0,0]
	v_pk_add_f32 v[72:73], v[24:25], v[92:93] neg_lo:[0,1] neg_hi:[0,1]
	v_pk_add_f32 v[68:69], v[54:55], v[68:69] neg_lo:[0,1] neg_hi:[0,1]
	ds_read_b64 v[0:1], v39
	ds_read_b64 v[36:37], v40
	;; [unrolled: 1-line block ×3, first 2 shown]
	v_pk_fma_f32 v[54:55], v[54:55], 2.0, v[68:69] op_sel_hi:[1,0,1] neg_lo:[0,0,1] neg_hi:[0,0,1]
	v_mov_b32_e32 v71, v3
	v_pk_fma_f32 v[2:3], v[24:25], 2.0, v[72:73] op_sel_hi:[1,0,1] neg_lo:[0,0,1] neg_hi:[0,0,1]
	v_pk_add_f32 v[92:93], v[72:73], v[68:69] op_sel:[0,1] op_sel_hi:[1,0] neg_lo:[0,1] neg_hi:[0,1]
	v_pk_add_f32 v[68:69], v[72:73], v[68:69] op_sel:[0,1] op_sel_hi:[1,0]
	v_mov_b32_e32 v67, v5
	v_pk_add_f32 v[4:5], v[2:3], v[54:55] neg_lo:[0,1] neg_hi:[0,1]
	v_mov_b32_e32 v93, v69
	v_pk_fma_f32 v[2:3], v[2:3], 2.0, v[4:5] op_sel_hi:[1,0,1] neg_lo:[0,0,1] neg_hi:[0,0,1]
	v_mov_b32_e32 v101, v7
	v_mov_b32_e32 v59, v61
	;; [unrolled: 1-line block ×3, first 2 shown]
	ds_read_b64 v[6:7], v41
	ds_read_b64 v[24:25], v42
	s_waitcnt lgkmcnt(0)
	s_barrier
	ds_write_b64 v30, v[2:3]
	v_pk_fma_f32 v[2:3], v[72:73], 2.0, v[92:93] op_sel_hi:[1,0,1] neg_lo:[0,0,1] neg_hi:[0,0,1]
	ds_write_b64 v30, v[2:3] offset:6912
	ds_write_b64 v30, v[4:5] offset:13824
	;; [unrolled: 1-line block ×3, first 2 shown]
	v_pk_add_f32 v[2:3], v[36:37], v[94:95] neg_lo:[0,1] neg_hi:[0,1]
	v_pk_add_f32 v[26:27], v[58:59], v[70:71] neg_lo:[0,1] neg_hi:[0,1]
	v_mov_b32_e32 v65, v29
	v_pk_fma_f32 v[4:5], v[36:37], 2.0, v[2:3] op_sel_hi:[1,0,1] neg_lo:[0,0,1] neg_hi:[0,0,1]
	v_pk_fma_f32 v[28:29], v[58:59], 2.0, v[26:27] op_sel_hi:[1,0,1] neg_lo:[0,0,1] neg_hi:[0,0,1]
	v_pk_add_f32 v[54:55], v[24:25], v[90:91] neg_lo:[0,1] neg_hi:[0,1]
	v_pk_add_f32 v[28:29], v[4:5], v[28:29] neg_lo:[0,1] neg_hi:[0,1]
	v_pk_fma_f32 v[24:25], v[24:25], 2.0, v[54:55] op_sel_hi:[1,0,1] neg_lo:[0,0,1] neg_hi:[0,0,1]
	v_pk_fma_f32 v[4:5], v[4:5], 2.0, v[28:29] op_sel_hi:[1,0,1] neg_lo:[0,0,1] neg_hi:[0,0,1]
	ds_write_b64 v40, v[4:5]
	v_pk_add_f32 v[4:5], v[2:3], v[26:27] op_sel:[0,1] op_sel_hi:[1,0] neg_lo:[0,1] neg_hi:[0,1]
	v_pk_add_f32 v[26:27], v[2:3], v[26:27] op_sel:[0,1] op_sel_hi:[1,0]
	v_mov_b32_e32 v85, v49
	v_mov_b32_e32 v5, v27
	v_pk_fma_f32 v[2:3], v[2:3], 2.0, v[4:5] op_sel_hi:[1,0,1] neg_lo:[0,0,1] neg_hi:[0,0,1]
	ds_write_b64 v40, v[2:3] offset:6912
	v_pk_add_f32 v[2:3], v[56:57], v[78:79] neg_lo:[0,1] neg_hi:[0,1]
	v_mov_b32_e32 v87, v51
	v_pk_fma_f32 v[26:27], v[56:57], 2.0, v[2:3] op_sel_hi:[1,0,1] neg_lo:[0,0,1] neg_hi:[0,0,1]
	v_pk_add_f32 v[56:57], v[88:89], v[66:67] neg_lo:[0,1] neg_hi:[0,1]
	v_pk_add_f32 v[48:49], v[6:7], v[86:87] neg_lo:[0,1] neg_hi:[0,1]
	v_pk_fma_f32 v[58:59], v[88:89], 2.0, v[56:57] op_sel_hi:[1,0,1] neg_lo:[0,0,1] neg_hi:[0,0,1]
	v_pk_add_f32 v[50:51], v[84:85], v[100:101] neg_lo:[0,1] neg_hi:[0,1]
	v_pk_add_f32 v[58:59], v[24:25], v[58:59] neg_lo:[0,1] neg_hi:[0,1]
	v_pk_fma_f32 v[6:7], v[6:7], 2.0, v[48:49] op_sel_hi:[1,0,1] neg_lo:[0,0,1] neg_hi:[0,0,1]
	v_pk_fma_f32 v[24:25], v[24:25], 2.0, v[58:59] op_sel_hi:[1,0,1] neg_lo:[0,0,1] neg_hi:[0,0,1]
	;; [unrolled: 1-line block ×3, first 2 shown]
	ds_write_b64 v40, v[28:29] offset:13824
	ds_write_b64 v40, v[4:5] offset:20736
	ds_write_b64 v42, v[24:25]
	v_pk_add_f32 v[4:5], v[54:55], v[56:57] op_sel:[0,1] op_sel_hi:[1,0] neg_lo:[0,1] neg_hi:[0,1]
	v_pk_add_f32 v[24:25], v[54:55], v[56:57] op_sel:[0,1] op_sel_hi:[1,0]
	v_pk_add_f32 v[52:53], v[6:7], v[52:53] neg_lo:[0,1] neg_hi:[0,1]
	v_mov_b32_e32 v5, v25
	v_pk_add_f32 v[34:35], v[0:1], v[34:35] neg_lo:[0,1] neg_hi:[0,1]
	v_pk_add_f32 v[44:45], v[82:83], v[64:65] neg_lo:[0,1] neg_hi:[0,1]
	v_pk_fma_f32 v[6:7], v[6:7], 2.0, v[52:53] op_sel_hi:[1,0,1] neg_lo:[0,0,1] neg_hi:[0,0,1]
	v_pk_fma_f32 v[24:25], v[54:55], 2.0, v[4:5] op_sel_hi:[1,0,1] neg_lo:[0,0,1] neg_hi:[0,0,1]
	;; [unrolled: 1-line block ×4, first 2 shown]
	ds_write_b64 v42, v[24:25] offset:6912
	ds_write_b64 v42, v[58:59] offset:13824
	;; [unrolled: 1-line block ×3, first 2 shown]
	ds_write_b64 v41, v[6:7]
	v_pk_add_f32 v[4:5], v[48:49], v[50:51] op_sel:[0,1] op_sel_hi:[1,0] neg_lo:[0,1] neg_hi:[0,1]
	v_pk_add_f32 v[6:7], v[48:49], v[50:51] op_sel:[0,1] op_sel_hi:[1,0]
	v_pk_add_f32 v[46:47], v[0:1], v[46:47] neg_lo:[0,1] neg_hi:[0,1]
	v_mov_b32_e32 v5, v7
	v_mov_b32_e32 v97, v63
	v_pk_fma_f32 v[0:1], v[0:1], 2.0, v[46:47] op_sel_hi:[1,0,1] neg_lo:[0,0,1] neg_hi:[0,0,1]
	v_pk_fma_f32 v[6:7], v[48:49], 2.0, v[4:5] op_sel_hi:[1,0,1] neg_lo:[0,0,1] neg_hi:[0,0,1]
	v_pk_add_f32 v[32:33], v[76:77], v[96:97] neg_lo:[0,1] neg_hi:[0,1]
	ds_write_b64 v41, v[6:7] offset:6912
	ds_write_b64 v41, v[52:53] offset:13824
	;; [unrolled: 1-line block ×3, first 2 shown]
	ds_write_b64 v39, v[0:1]
	v_pk_add_f32 v[0:1], v[34:35], v[44:45] op_sel:[0,1] op_sel_hi:[1,0] neg_lo:[0,1] neg_hi:[0,1]
	v_pk_add_f32 v[4:5], v[34:35], v[44:45] op_sel:[0,1] op_sel_hi:[1,0]
	v_pk_fma_f32 v[36:37], v[76:77], 2.0, v[32:33] op_sel_hi:[1,0,1] neg_lo:[0,0,1] neg_hi:[0,0,1]
	v_mov_b32_e32 v1, v5
	v_pk_add_f32 v[36:37], v[26:27], v[36:37] neg_lo:[0,1] neg_hi:[0,1]
	v_pk_fma_f32 v[4:5], v[34:35], 2.0, v[0:1] op_sel_hi:[1,0,1] neg_lo:[0,0,1] neg_hi:[0,0,1]
	v_pk_fma_f32 v[26:27], v[26:27], 2.0, v[36:37] op_sel_hi:[1,0,1] neg_lo:[0,0,1] neg_hi:[0,0,1]
	ds_write_b64 v39, v[4:5] offset:6912
	ds_write_b64 v39, v[46:47] offset:13824
	;; [unrolled: 1-line block ×3, first 2 shown]
	ds_write_b64 v43, v[26:27]
	v_pk_add_f32 v[0:1], v[2:3], v[32:33] op_sel:[0,1] op_sel_hi:[1,0] neg_lo:[0,1] neg_hi:[0,1]
	v_pk_add_f32 v[4:5], v[2:3], v[32:33] op_sel:[0,1] op_sel_hi:[1,0]
	v_sub_u32_e32 v6, 0, v9
	v_mov_b32_e32 v1, v5
	v_pk_fma_f32 v[2:3], v[2:3], 2.0, v[0:1] op_sel_hi:[1,0,1] neg_lo:[0,0,1] neg_hi:[0,0,1]
	ds_write_b64 v43, v[2:3] offset:6912
	ds_write_b64 v43, v[36:37] offset:13824
	;; [unrolled: 1-line block ×3, first 2 shown]
	s_waitcnt lgkmcnt(0)
	s_barrier
	ds_read_b64 v[4:5], v30
                                        ; implicit-def: $vgpr2_vgpr3
                                        ; implicit-def: $vgpr1
	s_and_saveexec_b64 s[4:5], vcc
	s_xor_b64 s[4:5], exec, s[4:5]
	s_cbranch_execz .LBB0_15
; %bb.14:
	v_mov_b32_e32 v9, v23
	v_lshl_add_u64 v[0:1], v[8:9], 3, s[2:3]
	global_load_dwordx2 v[2:3], v[0:1], off
	ds_read_b64 v[0:1], v6 offset:27648
	v_mov_b32_e32 v23, 0.5
	v_mov_b32_e32 v24, v23
	s_waitcnt lgkmcnt(0)
	v_pk_add_f32 v[26:27], v[0:1], v[4:5]
	v_pk_add_f32 v[0:1], v[4:5], v[0:1] neg_lo:[0,1] neg_hi:[0,1]
	v_mov_b32_e32 v4, v27
	v_mov_b32_e32 v5, v0
	v_pk_mul_f32 v[4:5], v[4:5], 0.5 op_sel_hi:[1,0]
	s_waitcnt vmcnt(0)
	v_mov_b32_e32 v22, v3
	v_mov_b32_e32 v0, v5
	;; [unrolled: 1-line block ×4, first 2 shown]
	v_pk_mul_f32 v[0:1], v[22:23], v[0:1]
	v_pk_mul_f32 v[28:29], v[2:3], v[4:5] op_sel_hi:[0,1]
	v_pk_fma_f32 v[22:23], v[26:27], v[24:25], v[0:1]
	v_pk_fma_f32 v[24:25], v[26:27], v[24:25], v[0:1] neg_lo:[0,0,1] neg_hi:[0,0,1]
	v_add_f32_e32 v0, v28, v22
	v_sub_f32_e32 v1, v23, v29
	ds_write_b32 v30, v0
	v_pk_fma_f32 v[2:3], v[2:3], v[4:5], v[24:25] op_sel_hi:[0,1,1] neg_lo:[1,0,0] neg_hi:[1,0,0]
                                        ; implicit-def: $vgpr4_vgpr5
.LBB0_15:
	s_or_saveexec_b64 s[4:5], s[4:5]
	v_mul_i32_i24_e32 v9, 0xffffffd8, v12
	v_mul_i32_i24_e32 v7, 0xffffffd8, v16
	v_mul_i32_i24_e32 v22, 0xffffffd8, v20
	s_xor_b64 exec, exec, s[4:5]
	s_cbranch_execz .LBB0_17
; %bb.16:
	s_waitcnt lgkmcnt(0)
	v_mov_b32_e32 v0, v5
	v_pk_add_f32 v[0:1], v[4:5], v[0:1] neg_lo:[0,1] neg_hi:[0,1]
	v_add_f32_e32 v3, v5, v4
	v_mov_b32_e32 v1, 0
	ds_read_b32 v2, v1 offset:13828
	ds_write_b32 v30, v3
	s_waitcnt lgkmcnt(1)
	v_xor_b32_e32 v2, 0x80000000, v2
	ds_write_b32 v1, v2 offset:13828
	v_mov_b64_e32 v[2:3], v[0:1]
.LBB0_17:
	s_or_b64 exec, exec, s[4:5]
	v_mov_b32_e32 v13, 0
	s_waitcnt lgkmcnt(0)
	v_lshl_add_u64 v[4:5], v[12:13], 3, s[2:3]
	global_load_dwordx2 v[4:5], v[4:5], off
	v_mov_b32_e32 v17, v13
	v_lshl_add_u64 v[16:17], v[16:17], 3, s[2:3]
	global_load_dwordx2 v[16:17], v[16:17], off
	v_mov_b32_e32 v21, v13
	v_lshl_add_u64 v[20:21], v[20:21], 3, s[2:3]
	global_load_dwordx2 v[20:21], v[20:21], off
	v_add_u32_e32 v7, v19, v7
	v_mov_b32_e32 v19, v13
	ds_write_b32 v30, v1 offset:4
	ds_write_b64 v6, v[2:3] offset:27648
	v_lshl_add_u64 v[2:3], v[18:19], 3, s[2:3]
	global_load_dwordx2 v[2:3], v[2:3], off
	v_add_u32_e32 v9, v15, v9
	v_mov_b32_e32 v15, v13
	v_lshl_add_u64 v[14:15], v[14:15], 3, s[2:3]
	v_add_u32_e32 v31, v31, v22
	ds_read_b64 v[18:19], v9
	ds_read_b64 v[22:23], v6 offset:26496
	global_load_dwordx2 v[14:15], v[14:15], off
	v_mov_b32_e32 v1, 0.5
	v_mov_b32_e32 v24, v1
	v_add_u32_e32 v12, 0x360, v8
	s_waitcnt lgkmcnt(0)
	v_pk_add_f32 v[40:41], v[18:19], v[22:23]
	v_pk_add_f32 v[18:19], v[18:19], v[22:23] neg_lo:[0,1] neg_hi:[0,1]
	v_mov_b32_e32 v22, v41
	v_mov_b32_e32 v23, v18
	v_pk_mul_f32 v[22:23], v[22:23], 0.5 op_sel_hi:[1,0]
	v_mov_b32_e32 v26, v1
	v_mov_b32_e32 v18, v23
	;; [unrolled: 1-line block ×7, first 2 shown]
	s_waitcnt vmcnt(4)
	v_mov_b32_e32 v0, v5
	v_mov_b32_e32 v25, v5
	v_pk_mul_f32 v[18:19], v[0:1], v[18:19]
	s_waitcnt vmcnt(3)
	v_mov_b32_e32 v0, v17
	v_pk_fma_f32 v[44:45], v[40:41], v[24:25], v[18:19]
	v_pk_fma_f32 v[18:19], v[40:41], v[24:25], v[18:19] neg_lo:[0,0,1] neg_hi:[0,0,1]
	v_pk_fma_f32 v[24:25], v[4:5], v[22:23], v[44:45]
	v_pk_fma_f32 v[40:41], v[4:5], v[22:23], v[44:45] op_sel_hi:[0,1,1] neg_lo:[1,0,0] neg_hi:[1,0,0]
	v_mov_b32_e32 v25, v41
	v_pk_fma_f32 v[4:5], v[4:5], v[22:23], v[18:19] op_sel_hi:[0,1,1] neg_lo:[1,0,0] neg_hi:[1,0,0]
	ds_write_b64 v9, v[24:25]
	ds_write_b64 v6, v[4:5] offset:26496
	v_lshl_add_u64 v[22:23], v[12:13], 3, s[2:3]
	ds_read_b64 v[4:5], v7
	ds_read_b64 v[18:19], v6 offset:25344
	global_load_dwordx2 v[22:23], v[22:23], off
	v_mov_b32_e32 v27, v17
	v_add_u32_e32 v12, 0x3f0, v8
	s_waitcnt vmcnt(3)
	v_mov_b32_e32 v29, v21
	s_waitcnt lgkmcnt(0)
	v_pk_add_f32 v[24:25], v[4:5], v[18:19]
	v_pk_add_f32 v[4:5], v[4:5], v[18:19] neg_lo:[0,1] neg_hi:[0,1]
	v_mov_b32_e32 v18, v25
	v_mov_b32_e32 v19, v4
	v_pk_mul_f32 v[18:19], v[18:19], 0.5 op_sel_hi:[1,0]
	s_waitcnt vmcnt(2)
	v_mov_b32_e32 v33, v3
	v_mov_b32_e32 v4, v19
	;; [unrolled: 1-line block ×3, first 2 shown]
	v_pk_mul_f32 v[4:5], v[0:1], v[4:5]
	v_mov_b32_e32 v0, v21
	v_pk_fma_f32 v[40:41], v[24:25], v[26:27], v[4:5]
	v_pk_fma_f32 v[4:5], v[24:25], v[26:27], v[4:5] neg_lo:[0,0,1] neg_hi:[0,0,1]
	v_pk_fma_f32 v[24:25], v[16:17], v[18:19], v[40:41]
	v_pk_fma_f32 v[26:27], v[16:17], v[18:19], v[40:41] op_sel_hi:[0,1,1] neg_lo:[1,0,0] neg_hi:[1,0,0]
	v_mov_b32_e32 v25, v27
	v_pk_fma_f32 v[4:5], v[16:17], v[18:19], v[4:5] op_sel_hi:[0,1,1] neg_lo:[1,0,0] neg_hi:[1,0,0]
	ds_write_b64 v7, v[24:25]
	ds_write_b64 v6, v[4:5] offset:25344
	v_lshl_add_u64 v[18:19], v[12:13], 3, s[2:3]
	ds_read_b64 v[4:5], v31
	ds_read_b64 v[16:17], v6 offset:24192
	global_load_dwordx2 v[18:19], v[18:19], off
	v_add_u32_e32 v12, 0x480, v8
	s_waitcnt vmcnt(2)
	v_mov_b32_e32 v35, v15
	s_waitcnt lgkmcnt(0)
	v_pk_add_f32 v[24:25], v[4:5], v[16:17]
	v_pk_add_f32 v[4:5], v[4:5], v[16:17] neg_lo:[0,1] neg_hi:[0,1]
	v_mov_b32_e32 v16, v25
	v_mov_b32_e32 v17, v4
	v_pk_mul_f32 v[16:17], v[16:17], 0.5 op_sel_hi:[1,0]
	s_waitcnt vmcnt(1)
	v_mov_b32_e32 v37, v23
	v_mov_b32_e32 v4, v17
	;; [unrolled: 1-line block ×3, first 2 shown]
	v_pk_mul_f32 v[4:5], v[0:1], v[4:5]
	v_mov_b32_e32 v0, v3
	v_pk_fma_f32 v[26:27], v[24:25], v[28:29], v[4:5]
	v_pk_fma_f32 v[4:5], v[24:25], v[28:29], v[4:5] neg_lo:[0,0,1] neg_hi:[0,0,1]
	v_pk_fma_f32 v[24:25], v[20:21], v[16:17], v[26:27]
	v_pk_fma_f32 v[26:27], v[20:21], v[16:17], v[26:27] op_sel_hi:[0,1,1] neg_lo:[1,0,0] neg_hi:[1,0,0]
	v_mov_b32_e32 v25, v27
	v_pk_fma_f32 v[4:5], v[20:21], v[16:17], v[4:5] op_sel_hi:[0,1,1] neg_lo:[1,0,0] neg_hi:[1,0,0]
	ds_write_b64 v31, v[24:25]
	ds_write_b64 v6, v[4:5] offset:24192
	ds_read_b64 v[4:5], v39
	ds_read_b64 v[16:17], v6 offset:23040
	v_lshl_add_u64 v[20:21], v[12:13], 3, s[2:3]
	v_add_u32_e32 v12, 0x510, v8
	s_waitcnt lgkmcnt(0)
	v_pk_add_f32 v[24:25], v[4:5], v[16:17]
	v_pk_add_f32 v[4:5], v[4:5], v[16:17] neg_lo:[0,1] neg_hi:[0,1]
	v_mov_b32_e32 v16, v25
	v_mov_b32_e32 v17, v4
	v_pk_mul_f32 v[16:17], v[16:17], 0.5 op_sel_hi:[1,0]
	s_nop 0
	v_mov_b32_e32 v4, v17
	v_mov_b32_e32 v25, v16
	v_pk_mul_f32 v[4:5], v[0:1], v[4:5]
	v_mov_b32_e32 v0, v15
	v_pk_fma_f32 v[26:27], v[24:25], v[32:33], v[4:5]
	v_pk_fma_f32 v[4:5], v[24:25], v[32:33], v[4:5] neg_lo:[0,0,1] neg_hi:[0,0,1]
	v_pk_fma_f32 v[24:25], v[2:3], v[16:17], v[26:27]
	v_pk_fma_f32 v[26:27], v[2:3], v[16:17], v[26:27] op_sel_hi:[0,1,1] neg_lo:[1,0,0] neg_hi:[1,0,0]
	v_mov_b32_e32 v25, v27
	v_pk_fma_f32 v[2:3], v[2:3], v[16:17], v[4:5] op_sel_hi:[0,1,1] neg_lo:[1,0,0] neg_hi:[1,0,0]
	ds_write_b64 v39, v[24:25]
	ds_write_b64 v6, v[2:3] offset:23040
	ds_read_b64 v[2:3], v43
	ds_read_b64 v[4:5], v6 offset:21888
	global_load_dwordx2 v[16:17], v[20:21], off
	s_waitcnt lgkmcnt(0)
	v_pk_add_f32 v[20:21], v[2:3], v[4:5]
	v_pk_add_f32 v[2:3], v[2:3], v[4:5] neg_lo:[0,1] neg_hi:[0,1]
	v_mov_b32_e32 v4, v21
	v_mov_b32_e32 v5, v2
	v_pk_mul_f32 v[4:5], v[4:5], 0.5 op_sel_hi:[1,0]
	s_nop 0
	v_mov_b32_e32 v2, v5
	v_mov_b32_e32 v21, v4
	v_pk_mul_f32 v[2:3], v[0:1], v[2:3]
	v_mov_b32_e32 v0, v23
	v_pk_fma_f32 v[24:25], v[20:21], v[34:35], v[2:3]
	v_pk_fma_f32 v[2:3], v[20:21], v[34:35], v[2:3] neg_lo:[0,0,1] neg_hi:[0,0,1]
	v_pk_fma_f32 v[20:21], v[14:15], v[4:5], v[24:25]
	v_pk_fma_f32 v[24:25], v[14:15], v[4:5], v[24:25] op_sel_hi:[0,1,1] neg_lo:[1,0,0] neg_hi:[1,0,0]
	v_mov_b32_e32 v21, v25
	v_pk_fma_f32 v[2:3], v[14:15], v[4:5], v[2:3] op_sel_hi:[0,1,1] neg_lo:[1,0,0] neg_hi:[1,0,0]
	ds_write_b64 v43, v[20:21]
	ds_write_b64 v6, v[2:3] offset:21888
	v_lshl_add_u64 v[14:15], v[12:13], 3, s[2:3]
	ds_read_b64 v[2:3], v30 offset:6912
	ds_read_b64 v[4:5], v6 offset:20736
	global_load_dwordx2 v[14:15], v[14:15], off
	v_add_u32_e32 v12, 0x5a0, v8
	s_waitcnt lgkmcnt(0)
	v_pk_add_f32 v[20:21], v[2:3], v[4:5]
	v_pk_add_f32 v[2:3], v[2:3], v[4:5] neg_lo:[0,1] neg_hi:[0,1]
	v_mov_b32_e32 v4, v21
	v_mov_b32_e32 v5, v2
	v_pk_mul_f32 v[4:5], v[4:5], 0.5 op_sel_hi:[1,0]
	s_nop 0
	v_mov_b32_e32 v2, v5
	v_mov_b32_e32 v21, v4
	v_pk_mul_f32 v[2:3], v[0:1], v[2:3]
	s_waitcnt vmcnt(2)
	v_mov_b32_e32 v0, v19
	v_pk_fma_f32 v[24:25], v[20:21], v[36:37], v[2:3]
	v_pk_fma_f32 v[2:3], v[20:21], v[36:37], v[2:3] neg_lo:[0,0,1] neg_hi:[0,0,1]
	v_pk_fma_f32 v[20:21], v[22:23], v[4:5], v[24:25]
	v_pk_fma_f32 v[24:25], v[22:23], v[4:5], v[24:25] op_sel_hi:[0,1,1] neg_lo:[1,0,0] neg_hi:[1,0,0]
	v_mov_b32_e32 v21, v25
	v_pk_fma_f32 v[2:3], v[22:23], v[4:5], v[2:3] op_sel_hi:[0,1,1] neg_lo:[1,0,0] neg_hi:[1,0,0]
	ds_write_b64 v30, v[20:21] offset:6912
	ds_write_b64 v6, v[2:3] offset:20736
	v_lshl_add_u64 v[22:23], v[12:13], 3, s[2:3]
	ds_read_b64 v[2:3], v30 offset:8064
	ds_read_b64 v[4:5], v6 offset:19584
	global_load_dwordx2 v[22:23], v[22:23], off
	v_mov_b32_e32 v24, v1
	v_mov_b32_e32 v25, v19
	v_add_u32_e32 v12, 0x630, v8
	s_waitcnt lgkmcnt(0)
	v_pk_add_f32 v[20:21], v[2:3], v[4:5]
	v_pk_add_f32 v[2:3], v[2:3], v[4:5] neg_lo:[0,1] neg_hi:[0,1]
	v_mov_b32_e32 v4, v21
	v_mov_b32_e32 v5, v2
	v_pk_mul_f32 v[4:5], v[4:5], 0.5 op_sel_hi:[1,0]
	s_nop 0
	v_mov_b32_e32 v2, v5
	v_pk_mul_f32 v[2:3], v[0:1], v[2:3]
	v_mov_b32_e32 v21, v4
	v_pk_fma_f32 v[26:27], v[20:21], v[24:25], v[2:3]
	v_pk_fma_f32 v[2:3], v[20:21], v[24:25], v[2:3] neg_lo:[0,0,1] neg_hi:[0,0,1]
	v_pk_fma_f32 v[28:29], v[18:19], v[4:5], v[26:27]
	v_pk_fma_f32 v[26:27], v[18:19], v[4:5], v[26:27] op_sel_hi:[0,1,1] neg_lo:[1,0,0] neg_hi:[1,0,0]
	v_mov_b32_e32 v29, v27
	v_pk_fma_f32 v[2:3], v[18:19], v[4:5], v[2:3] op_sel_hi:[0,1,1] neg_lo:[1,0,0] neg_hi:[1,0,0]
	ds_write_b64 v30, v[28:29] offset:8064
	ds_write_b64 v6, v[2:3] offset:19584
	v_lshl_add_u64 v[20:21], v[12:13], 3, s[2:3]
	ds_read_b64 v[2:3], v30 offset:9216
	ds_read_b64 v[4:5], v6 offset:18432
	global_load_dwordx2 v[20:21], v[20:21], off
	s_waitcnt lgkmcnt(0)
	v_pk_add_f32 v[18:19], v[2:3], v[4:5]
	v_pk_add_f32 v[2:3], v[2:3], v[4:5] neg_lo:[0,1] neg_hi:[0,1]
	v_mov_b32_e32 v4, v19
	v_mov_b32_e32 v5, v2
	v_pk_mul_f32 v[4:5], v[4:5], 0.5 op_sel_hi:[1,0]
	s_waitcnt vmcnt(3)
	v_mov_b32_e32 v0, v17
	v_mov_b32_e32 v2, v5
	v_pk_mul_f32 v[2:3], v[0:1], v[2:3]
	v_mov_b32_e32 v19, v4
	v_mov_b32_e32 v25, v17
	v_pk_fma_f32 v[26:27], v[18:19], v[24:25], v[2:3]
	v_pk_fma_f32 v[2:3], v[18:19], v[24:25], v[2:3] neg_lo:[0,0,1] neg_hi:[0,0,1]
	v_pk_fma_f32 v[28:29], v[16:17], v[4:5], v[26:27]
	v_pk_fma_f32 v[26:27], v[16:17], v[4:5], v[26:27] op_sel_hi:[0,1,1] neg_lo:[1,0,0] neg_hi:[1,0,0]
	v_mov_b32_e32 v29, v27
	v_pk_fma_f32 v[2:3], v[16:17], v[4:5], v[2:3] op_sel_hi:[0,1,1] neg_lo:[1,0,0] neg_hi:[1,0,0]
	ds_write_b64 v30, v[28:29] offset:9216
	ds_write_b64 v6, v[2:3] offset:18432
	ds_read_b64 v[2:3], v30 offset:10368
	ds_read_b64 v[4:5], v6 offset:17280
	v_mov_b32_e32 v18, v1
	s_waitcnt lgkmcnt(0)
	v_pk_add_f32 v[16:17], v[2:3], v[4:5]
	v_pk_add_f32 v[2:3], v[2:3], v[4:5] neg_lo:[0,1] neg_hi:[0,1]
	v_mov_b32_e32 v4, v17
	v_mov_b32_e32 v5, v2
	v_pk_mul_f32 v[4:5], v[4:5], 0.5 op_sel_hi:[1,0]
	s_waitcnt vmcnt(2)
	v_mov_b32_e32 v0, v15
	v_mov_b32_e32 v2, v5
	v_pk_mul_f32 v[2:3], v[0:1], v[2:3]
	v_mov_b32_e32 v17, v4
	v_mov_b32_e32 v19, v15
	v_pk_fma_f32 v[24:25], v[16:17], v[18:19], v[2:3]
	v_pk_fma_f32 v[2:3], v[16:17], v[18:19], v[2:3] neg_lo:[0,0,1] neg_hi:[0,0,1]
	v_pk_fma_f32 v[26:27], v[14:15], v[4:5], v[24:25]
	v_pk_fma_f32 v[24:25], v[14:15], v[4:5], v[24:25] op_sel_hi:[0,1,1] neg_lo:[1,0,0] neg_hi:[1,0,0]
	v_mov_b32_e32 v27, v25
	v_pk_fma_f32 v[2:3], v[14:15], v[4:5], v[2:3] op_sel_hi:[0,1,1] neg_lo:[1,0,0] neg_hi:[1,0,0]
	ds_write_b64 v30, v[26:27] offset:10368
	ds_write_b64 v6, v[2:3] offset:17280
	ds_read_b64 v[2:3], v30 offset:11520
	ds_read_b64 v[4:5], v6 offset:16128
	v_mov_b32_e32 v16, v1
	s_waitcnt lgkmcnt(0)
	v_pk_add_f32 v[14:15], v[2:3], v[4:5]
	v_pk_add_f32 v[2:3], v[2:3], v[4:5] neg_lo:[0,1] neg_hi:[0,1]
	v_mov_b32_e32 v4, v15
	v_mov_b32_e32 v5, v2
	v_pk_mul_f32 v[4:5], v[4:5], 0.5 op_sel_hi:[1,0]
	s_waitcnt vmcnt(1)
	v_mov_b32_e32 v0, v23
	v_mov_b32_e32 v2, v5
	v_pk_mul_f32 v[2:3], v[0:1], v[2:3]
	v_mov_b32_e32 v15, v4
	v_mov_b32_e32 v17, v23
	v_pk_fma_f32 v[18:19], v[14:15], v[16:17], v[2:3]
	v_pk_fma_f32 v[2:3], v[14:15], v[16:17], v[2:3] neg_lo:[0,0,1] neg_hi:[0,0,1]
	v_pk_fma_f32 v[24:25], v[22:23], v[4:5], v[18:19]
	v_pk_fma_f32 v[18:19], v[22:23], v[4:5], v[18:19] op_sel_hi:[0,1,1] neg_lo:[1,0,0] neg_hi:[1,0,0]
	v_mov_b32_e32 v25, v19
	v_pk_fma_f32 v[2:3], v[22:23], v[4:5], v[2:3] op_sel_hi:[0,1,1] neg_lo:[1,0,0] neg_hi:[1,0,0]
	ds_write_b64 v30, v[24:25] offset:11520
	ds_write_b64 v6, v[2:3] offset:16128
	ds_read_b64 v[2:3], v30 offset:12672
	ds_read_b64 v[4:5], v6 offset:14976
	s_waitcnt lgkmcnt(0)
	v_pk_add_f32 v[14:15], v[2:3], v[4:5]
	v_pk_add_f32 v[2:3], v[2:3], v[4:5] neg_lo:[0,1] neg_hi:[0,1]
	v_mov_b32_e32 v4, v15
	v_mov_b32_e32 v5, v2
	v_pk_mul_f32 v[4:5], v[4:5], 0.5 op_sel_hi:[1,0]
	s_waitcnt vmcnt(0)
	v_mov_b32_e32 v0, v21
	v_mov_b32_e32 v2, v5
	v_pk_mul_f32 v[2:3], v[0:1], v[2:3]
	v_mov_b32_e32 v15, v4
	v_mov_b32_e32 v0, v1
	;; [unrolled: 1-line block ×3, first 2 shown]
	v_pk_fma_f32 v[16:17], v[14:15], v[0:1], v[2:3]
	v_pk_fma_f32 v[0:1], v[14:15], v[0:1], v[2:3] neg_lo:[0,0,1] neg_hi:[0,0,1]
	v_pk_fma_f32 v[18:19], v[20:21], v[4:5], v[16:17]
	v_pk_fma_f32 v[16:17], v[20:21], v[4:5], v[16:17] op_sel_hi:[0,1,1] neg_lo:[1,0,0] neg_hi:[1,0,0]
	v_mov_b32_e32 v19, v17
	v_pk_fma_f32 v[0:1], v[20:21], v[4:5], v[0:1] op_sel_hi:[0,1,1] neg_lo:[1,0,0] neg_hi:[1,0,0]
	ds_write_b64 v30, v[18:19] offset:12672
	ds_write_b64 v6, v[0:1] offset:14976
	s_waitcnt lgkmcnt(0)
	s_barrier
	s_and_saveexec_b64 s[2:3], s[0:1]
	s_cbranch_execz .LBB0_20
; %bb.18:
	ds_read2_b64 v[0:3], v30 offset1:144
	v_add_u32_e32 v4, 0x800, v30
	ds_read2_b64 v[4:7], v4 offset0:32 offset1:176
	v_mov_b32_e32 v9, v13
	v_lshl_add_u64 v[18:19], v[8:9], 3, v[10:11]
	s_waitcnt lgkmcnt(1)
	global_store_dwordx2 v[18:19], v[0:1], off
	global_store_dwordx2 v[18:19], v[2:3], off offset:1152
	s_waitcnt lgkmcnt(0)
	global_store_dwordx2 v[18:19], v[4:5], off offset:2304
	global_store_dwordx2 v[18:19], v[6:7], off offset:3456
	v_add_u32_e32 v0, 0x1000, v30
	ds_read2_b64 v[0:3], v0 offset0:64 offset1:208
	v_add_u32_e32 v4, 0x1800, v30
	ds_read2_b64 v[4:7], v4 offset0:96 offset1:240
	v_add_co_u32_e32 v14, vcc, 0x1000, v18
	v_or_b32_e32 v12, 0x900, v8
	s_nop 0
	v_addc_co_u32_e32 v15, vcc, 0, v19, vcc
	s_waitcnt lgkmcnt(1)
	global_store_dwordx2 v[14:15], v[0:1], off offset:512
	global_store_dwordx2 v[14:15], v[2:3], off offset:1664
	s_waitcnt lgkmcnt(0)
	global_store_dwordx2 v[14:15], v[4:5], off offset:2816
	global_store_dwordx2 v[14:15], v[6:7], off offset:3968
	v_add_u32_e32 v0, 0x2400, v30
	ds_read2_b64 v[0:3], v0 offset1:144
	v_add_u32_e32 v4, 0x2c00, v30
	ds_read2_b64 v[4:7], v4 offset0:32 offset1:176
	v_add_co_u32_e32 v14, vcc, 0x2000, v18
	s_movk_i32 s0, 0x8f
	s_nop 0
	v_addc_co_u32_e32 v15, vcc, 0, v19, vcc
	s_waitcnt lgkmcnt(1)
	global_store_dwordx2 v[14:15], v[0:1], off offset:1024
	global_store_dwordx2 v[14:15], v[2:3], off offset:2176
	s_waitcnt lgkmcnt(0)
	global_store_dwordx2 v[14:15], v[4:5], off offset:3328
	v_add_u32_e32 v0, 0x3400, v30
	ds_read2_b64 v[0:3], v0 offset0:64 offset1:208
	v_add_u32_e32 v5, 0x3c00, v30
	v_add_co_u32_e32 v4, vcc, 0x3000, v18
	ds_read2_b64 v[14:17], v5 offset0:96 offset1:240
	s_nop 0
	v_addc_co_u32_e32 v5, vcc, 0, v19, vcc
	global_store_dwordx2 v[4:5], v[6:7], off offset:384
	s_waitcnt lgkmcnt(1)
	global_store_dwordx2 v[4:5], v[0:1], off offset:1536
	global_store_dwordx2 v[4:5], v[2:3], off offset:2688
	s_waitcnt lgkmcnt(0)
	global_store_dwordx2 v[4:5], v[14:15], off offset:3840
	v_add_u32_e32 v0, 0x4800, v30
	ds_read2_b64 v[0:3], v0 offset1:144
	v_add_co_u32_e32 v4, vcc, 0x4000, v18
	v_lshl_add_u64 v[6:7], v[12:13], 3, v[10:11]
	s_nop 0
	v_addc_co_u32_e32 v5, vcc, 0, v19, vcc
	global_store_dwordx2 v[4:5], v[16:17], off offset:896
	s_waitcnt lgkmcnt(0)
	global_store_dwordx2 v[6:7], v[0:1], off
	global_store_dwordx2 v[4:5], v[2:3], off offset:3200
	v_add_u32_e32 v0, 0x5000, v30
	ds_read2_b64 v[0:3], v0 offset0:32 offset1:176
	v_add_u32_e32 v4, 0x5800, v30
	ds_read2_b64 v[4:7], v4 offset0:64 offset1:208
	v_add_co_u32_e32 v12, vcc, 0x5000, v18
	s_nop 1
	v_addc_co_u32_e32 v13, vcc, 0, v19, vcc
	s_waitcnt lgkmcnt(1)
	global_store_dwordx2 v[12:13], v[0:1], off offset:256
	global_store_dwordx2 v[12:13], v[2:3], off offset:1408
	s_waitcnt lgkmcnt(0)
	global_store_dwordx2 v[12:13], v[4:5], off offset:2560
	global_store_dwordx2 v[12:13], v[6:7], off offset:3712
	v_add_u32_e32 v0, 0x6000, v30
	ds_read2_b64 v[0:3], v0 offset0:96 offset1:240
	v_add_co_u32_e32 v4, vcc, 0x6000, v18
	s_nop 1
	v_addc_co_u32_e32 v5, vcc, 0, v19, vcc
	v_cmp_eq_u32_e32 vcc, s0, v8
	s_waitcnt lgkmcnt(0)
	global_store_dwordx2 v[4:5], v[0:1], off offset:768
	global_store_dwordx2 v[4:5], v[2:3], off offset:1920
	s_and_b64 exec, exec, vcc
	s_cbranch_execz .LBB0_20
; %bb.19:
	v_mov_b32_e32 v0, 0
	ds_read_b64 v[0:1], v0 offset:27648
	v_add_co_u32_e32 v2, vcc, 0x6000, v10
	s_nop 1
	v_addc_co_u32_e32 v3, vcc, 0, v11, vcc
	s_waitcnt lgkmcnt(0)
	global_store_dwordx2 v[2:3], v[0:1], off offset:3072
.LBB0_20:
	s_endpgm
	.section	.rodata,"a",@progbits
	.p2align	6, 0x0
	.amdhsa_kernel fft_rtc_fwd_len3456_factors_6_6_6_4_4_wgs_144_tpt_144_halfLds_sp_ip_CI_unitstride_sbrr_R2C_dirReg
		.amdhsa_group_segment_fixed_size 0
		.amdhsa_private_segment_fixed_size 0
		.amdhsa_kernarg_size 88
		.amdhsa_user_sgpr_count 2
		.amdhsa_user_sgpr_dispatch_ptr 0
		.amdhsa_user_sgpr_queue_ptr 0
		.amdhsa_user_sgpr_kernarg_segment_ptr 1
		.amdhsa_user_sgpr_dispatch_id 0
		.amdhsa_user_sgpr_kernarg_preload_length 0
		.amdhsa_user_sgpr_kernarg_preload_offset 0
		.amdhsa_user_sgpr_private_segment_size 0
		.amdhsa_uses_dynamic_stack 0
		.amdhsa_enable_private_segment 0
		.amdhsa_system_sgpr_workgroup_id_x 1
		.amdhsa_system_sgpr_workgroup_id_y 0
		.amdhsa_system_sgpr_workgroup_id_z 0
		.amdhsa_system_sgpr_workgroup_info 0
		.amdhsa_system_vgpr_workitem_id 0
		.amdhsa_next_free_vgpr 128
		.amdhsa_next_free_sgpr 22
		.amdhsa_accum_offset 128
		.amdhsa_reserve_vcc 1
		.amdhsa_float_round_mode_32 0
		.amdhsa_float_round_mode_16_64 0
		.amdhsa_float_denorm_mode_32 3
		.amdhsa_float_denorm_mode_16_64 3
		.amdhsa_dx10_clamp 1
		.amdhsa_ieee_mode 1
		.amdhsa_fp16_overflow 0
		.amdhsa_tg_split 0
		.amdhsa_exception_fp_ieee_invalid_op 0
		.amdhsa_exception_fp_denorm_src 0
		.amdhsa_exception_fp_ieee_div_zero 0
		.amdhsa_exception_fp_ieee_overflow 0
		.amdhsa_exception_fp_ieee_underflow 0
		.amdhsa_exception_fp_ieee_inexact 0
		.amdhsa_exception_int_div_zero 0
	.end_amdhsa_kernel
	.text
.Lfunc_end0:
	.size	fft_rtc_fwd_len3456_factors_6_6_6_4_4_wgs_144_tpt_144_halfLds_sp_ip_CI_unitstride_sbrr_R2C_dirReg, .Lfunc_end0-fft_rtc_fwd_len3456_factors_6_6_6_4_4_wgs_144_tpt_144_halfLds_sp_ip_CI_unitstride_sbrr_R2C_dirReg
                                        ; -- End function
	.section	.AMDGPU.csdata,"",@progbits
; Kernel info:
; codeLenInByte = 13712
; NumSgprs: 28
; NumVgprs: 128
; NumAgprs: 0
; TotalNumVgprs: 128
; ScratchSize: 0
; MemoryBound: 0
; FloatMode: 240
; IeeeMode: 1
; LDSByteSize: 0 bytes/workgroup (compile time only)
; SGPRBlocks: 3
; VGPRBlocks: 15
; NumSGPRsForWavesPerEU: 28
; NumVGPRsForWavesPerEU: 128
; AccumOffset: 128
; Occupancy: 4
; WaveLimiterHint : 1
; COMPUTE_PGM_RSRC2:SCRATCH_EN: 0
; COMPUTE_PGM_RSRC2:USER_SGPR: 2
; COMPUTE_PGM_RSRC2:TRAP_HANDLER: 0
; COMPUTE_PGM_RSRC2:TGID_X_EN: 1
; COMPUTE_PGM_RSRC2:TGID_Y_EN: 0
; COMPUTE_PGM_RSRC2:TGID_Z_EN: 0
; COMPUTE_PGM_RSRC2:TIDIG_COMP_CNT: 0
; COMPUTE_PGM_RSRC3_GFX90A:ACCUM_OFFSET: 31
; COMPUTE_PGM_RSRC3_GFX90A:TG_SPLIT: 0
	.text
	.p2alignl 6, 3212836864
	.fill 256, 4, 3212836864
	.type	__hip_cuid_324ac3180fd3764b,@object ; @__hip_cuid_324ac3180fd3764b
	.section	.bss,"aw",@nobits
	.globl	__hip_cuid_324ac3180fd3764b
__hip_cuid_324ac3180fd3764b:
	.byte	0                               ; 0x0
	.size	__hip_cuid_324ac3180fd3764b, 1

	.ident	"AMD clang version 19.0.0git (https://github.com/RadeonOpenCompute/llvm-project roc-6.4.0 25133 c7fe45cf4b819c5991fe208aaa96edf142730f1d)"
	.section	".note.GNU-stack","",@progbits
	.addrsig
	.addrsig_sym __hip_cuid_324ac3180fd3764b
	.amdgpu_metadata
---
amdhsa.kernels:
  - .agpr_count:     0
    .args:
      - .actual_access:  read_only
        .address_space:  global
        .offset:         0
        .size:           8
        .value_kind:     global_buffer
      - .offset:         8
        .size:           8
        .value_kind:     by_value
      - .actual_access:  read_only
        .address_space:  global
        .offset:         16
        .size:           8
        .value_kind:     global_buffer
      - .actual_access:  read_only
        .address_space:  global
        .offset:         24
        .size:           8
        .value_kind:     global_buffer
      - .offset:         32
        .size:           8
        .value_kind:     by_value
      - .actual_access:  read_only
        .address_space:  global
        .offset:         40
        .size:           8
        .value_kind:     global_buffer
      - .actual_access:  read_only
        .address_space:  global
        .offset:         48
        .size:           8
        .value_kind:     global_buffer
      - .offset:         56
        .size:           4
        .value_kind:     by_value
      - .actual_access:  read_only
        .address_space:  global
        .offset:         64
        .size:           8
        .value_kind:     global_buffer
      - .actual_access:  read_only
        .address_space:  global
        .offset:         72
        .size:           8
        .value_kind:     global_buffer
      - .address_space:  global
        .offset:         80
        .size:           8
        .value_kind:     global_buffer
    .group_segment_fixed_size: 0
    .kernarg_segment_align: 8
    .kernarg_segment_size: 88
    .language:       OpenCL C
    .language_version:
      - 2
      - 0
    .max_flat_workgroup_size: 144
    .name:           fft_rtc_fwd_len3456_factors_6_6_6_4_4_wgs_144_tpt_144_halfLds_sp_ip_CI_unitstride_sbrr_R2C_dirReg
    .private_segment_fixed_size: 0
    .sgpr_count:     28
    .sgpr_spill_count: 0
    .symbol:         fft_rtc_fwd_len3456_factors_6_6_6_4_4_wgs_144_tpt_144_halfLds_sp_ip_CI_unitstride_sbrr_R2C_dirReg.kd
    .uniform_work_group_size: 1
    .uses_dynamic_stack: false
    .vgpr_count:     128
    .vgpr_spill_count: 0
    .wavefront_size: 64
amdhsa.target:   amdgcn-amd-amdhsa--gfx950
amdhsa.version:
  - 1
  - 2
...

	.end_amdgpu_metadata
